;; amdgpu-corpus repo=ROCm/rocFFT kind=compiled arch=gfx906 opt=O3
	.text
	.amdgcn_target "amdgcn-amd-amdhsa--gfx906"
	.amdhsa_code_object_version 6
	.protected	bluestein_single_back_len1728_dim1_half_op_CI_CI ; -- Begin function bluestein_single_back_len1728_dim1_half_op_CI_CI
	.globl	bluestein_single_back_len1728_dim1_half_op_CI_CI
	.p2align	8
	.type	bluestein_single_back_len1728_dim1_half_op_CI_CI,@function
bluestein_single_back_len1728_dim1_half_op_CI_CI: ; @bluestein_single_back_len1728_dim1_half_op_CI_CI
; %bb.0:
	s_load_dwordx4 s[12:15], s[4:5], 0x28
	v_mul_u32_u24_e32 v1, 0x25f, v0
	v_add_u32_sdwa v41, s6, v1 dst_sel:DWORD dst_unused:UNUSED_PAD src0_sel:DWORD src1_sel:WORD_1
	v_mov_b32_e32 v42, 0
	s_waitcnt lgkmcnt(0)
	v_cmp_gt_u64_e32 vcc, s[12:13], v[41:42]
	s_and_saveexec_b64 s[0:1], vcc
	s_cbranch_execz .LBB0_31
; %bb.1:
	s_load_dwordx4 s[8:11], s[4:5], 0x18
	s_load_dwordx2 s[12:13], s[4:5], 0x0
	s_movk_i32 s6, 0x6c
	v_mul_lo_u16_sdwa v1, v1, s6 dst_sel:DWORD dst_unused:UNUSED_PAD src0_sel:WORD_1 src1_sel:DWORD
	v_sub_u16_e32 v73, v0, v1
	s_waitcnt lgkmcnt(0)
	s_load_dwordx4 s[0:3], s[8:9], 0x0
	v_lshlrev_b32_e32 v58, 2, v73
	global_load_dword v75, v58, s[12:13]
	v_or_b32_e32 v70, 0x480, v73
	v_lshlrev_b32_e32 v46, 2, v70
	s_waitcnt lgkmcnt(0)
	v_mad_u64_u32 v[0:1], s[6:7], s2, v41, 0
	v_mad_u64_u32 v[2:3], s[6:7], s0, v73, 0
	s_mul_i32 s16, s1, 0xfffffbec
	v_mad_u64_u32 v[4:5], s[2:3], s3, v41, v[1:2]
	v_mad_u64_u32 v[5:6], s[2:3], s1, v73, v[3:4]
	v_mov_b32_e32 v1, v4
	v_lshlrev_b64 v[0:1], 2, v[0:1]
	v_mov_b32_e32 v6, s15
	v_mov_b32_e32 v3, v5
	v_add_co_u32_e32 v7, vcc, s14, v0
	v_addc_co_u32_e32 v6, vcc, v6, v1, vcc
	v_lshlrev_b64 v[0:1], 2, v[2:3]
	s_mul_i32 s2, s1, 0x240
	v_add_co_u32_e32 v0, vcc, v7, v0
	v_addc_co_u32_e32 v1, vcc, v6, v1, vcc
	global_load_dword v8, v[0:1], off
	s_mul_hi_u32 s3, s0, 0x240
	s_add_i32 s3, s3, s2
	s_mul_i32 s2, s0, 0x240
	s_lshl_b64 s[2:3], s[2:3], 2
	v_mov_b32_e32 v9, s3
	v_add_co_u32_e32 v2, vcc, s2, v0
	v_addc_co_u32_e32 v3, vcc, v1, v9, vcc
	global_load_dword v10, v[2:3], off
	global_load_dword v74, v58, s[12:13] offset:2304
	v_mad_u64_u32 v[0:1], s[6:7], s0, v70, 0
	s_movk_i32 s14, 0x1000
	s_mul_i32 s15, s1, 0xfffff8b0
	v_mad_u64_u32 v[4:5], s[6:7], s1, v70, v[1:2]
	v_mov_b32_e32 v5, 0xfffff8b0
	s_mul_hi_u32 s1, s0, 0xfffffbec
	v_mov_b32_e32 v1, v4
	v_lshlrev_b64 v[0:1], 2, v[0:1]
	s_sub_i32 s17, s15, s0
	v_add_co_u32_e32 v0, vcc, v7, v0
	v_addc_co_u32_e32 v1, vcc, v6, v1, vcc
	global_load_dword v4, v[0:1], off
	v_mov_b32_e32 v0, s13
	v_add_co_u32_e32 v39, vcc, s12, v58
	v_addc_co_u32_e32 v40, vcc, 0, v0, vcc
	v_add_co_u32_e32 v0, vcc, s14, v39
	s_mul_i32 s14, s0, 0xfffffbec
	s_sub_i32 s15, s1, s0
	v_mad_u64_u32 v[2:3], s[0:1], s0, v5, v[2:3]
	s_load_dwordx4 s[8:11], s[10:11], 0x0
	global_load_dword v72, v46, s[12:13]
	global_load_dword v68, v58, s[12:13] offset:2736
	global_load_dword v66, v58, s[12:13] offset:3168
	;; [unrolled: 1-line block ×6, first 2 shown]
	v_add_u32_e32 v3, s17, v3
	global_load_dword v6, v[2:3], off
	v_addc_co_u32_e32 v1, vcc, 0, v40, vcc
	v_add_co_u32_e32 v2, vcc, s2, v2
	v_addc_co_u32_e32 v3, vcc, v3, v9, vcc
	global_load_dword v7, v[2:3], off
	v_add_co_u32_e32 v2, vcc, s2, v2
	s_add_i32 s15, s15, s16
	v_addc_co_u32_e32 v3, vcc, v3, v9, vcc
	s_lshl_b64 s[14:15], s[14:15], 2
	global_load_dword v11, v[2:3], off
	global_load_dword v69, v[0:1], off offset:944
	v_mov_b32_e32 v5, s15
	v_add_co_u32_e32 v2, vcc, s14, v2
	v_addc_co_u32_e32 v3, vcc, v3, v5, vcc
	s_load_dwordx2 s[6:7], s[4:5], 0x38
	v_cmp_gt_u16_e64 s[0:1], 36, v73
	s_waitcnt vmcnt(14)
	v_lshrrev_b32_e32 v12, 16, v8
	v_mul_f16_sdwa v13, v75, v8 dst_sel:DWORD dst_unused:UNUSED_PAD src0_sel:WORD_1 src1_sel:DWORD
	v_mul_f16_sdwa v14, v75, v12 dst_sel:DWORD dst_unused:UNUSED_PAD src0_sel:WORD_1 src1_sel:DWORD
	v_fma_f16 v12, v75, v12, -v13
	global_load_dword v13, v[2:3], off
	v_add_co_u32_e32 v2, vcc, s2, v2
	v_fma_f16 v8, v75, v8, v14
	v_addc_co_u32_e32 v3, vcc, v3, v9, vcc
	v_pack_b32_f16 v8, v8, v12
	global_load_dword v12, v[2:3], off
	v_add_co_u32_e32 v2, vcc, s2, v2
	v_addc_co_u32_e32 v3, vcc, v3, v9, vcc
	s_waitcnt vmcnt(15)
	v_lshrrev_b32_e32 v14, 16, v10
	global_load_dword v16, v[2:3], off
	global_load_dword v65, v[0:1], off offset:1376
	s_waitcnt vmcnt(16)
	v_mul_f16_sdwa v15, v74, v14 dst_sel:DWORD dst_unused:UNUSED_PAD src0_sel:WORD_1 src1_sel:DWORD
	v_add_co_u32_e32 v2, vcc, s14, v2
	v_fma_f16 v15, v74, v10, v15
	v_mul_f16_sdwa v10, v74, v10 dst_sel:DWORD dst_unused:UNUSED_PAD src0_sel:WORD_1 src1_sel:DWORD
	v_addc_co_u32_e32 v3, vcc, v3, v5, vcc
	v_fma_f16 v10, v74, v14, -v10
	global_load_dword v14, v[2:3], off
	v_pack_b32_f16 v10, v15, v10
	v_add_co_u32_e32 v2, vcc, s2, v2
	ds_write_b32 v58, v10 offset:2304
	v_addc_co_u32_e32 v3, vcc, v3, v9, vcc
	global_load_dword v15, v[2:3], off
	global_load_dword v63, v58, s[12:13] offset:3600
	v_add_co_u32_e32 v2, vcc, s2, v2
	v_addc_co_u32_e32 v3, vcc, v3, v9, vcc
	global_load_dword v17, v[2:3], off
	global_load_dword v62, v[0:1], off offset:1808
	v_add_co_u32_e32 v2, vcc, s14, v2
	v_addc_co_u32_e32 v3, vcc, v3, v5, vcc
	global_load_dword v18, v[2:3], off
	v_add_co_u32_e32 v2, vcc, s2, v2
	v_addc_co_u32_e32 v3, vcc, v3, v9, vcc
	global_load_dword v19, v[2:3], off
	global_load_dword v60, v58, s[12:13] offset:4032
	v_add_co_u32_e32 v2, vcc, s2, v2
	v_addc_co_u32_e32 v3, vcc, v3, v9, vcc
	global_load_dword v9, v[2:3], off
	global_load_dword v59, v[0:1], off offset:2240
	s_waitcnt vmcnt(25)
	v_lshrrev_b32_e32 v10, 16, v4
	s_waitcnt vmcnt(24)
	v_mul_f16_sdwa v5, v72, v10 dst_sel:DWORD dst_unused:UNUSED_PAD src0_sel:WORD_1 src1_sel:DWORD
	v_fma_f16 v5, v72, v4, v5
	v_mul_f16_sdwa v4, v72, v4 dst_sel:DWORD dst_unused:UNUSED_PAD src0_sel:WORD_1 src1_sel:DWORD
	v_fma_f16 v4, v72, v10, -v4
	v_pack_b32_f16 v4, v5, v4
	ds_write_b32 v58, v4 offset:4608
	s_waitcnt vmcnt(17)
	v_lshrrev_b32_e32 v4, 16, v6
	v_mul_f16_sdwa v5, v71, v4 dst_sel:DWORD dst_unused:UNUSED_PAD src0_sel:WORD_1 src1_sel:DWORD
	v_fma_f16 v5, v71, v6, v5
	v_mul_f16_sdwa v6, v71, v6 dst_sel:DWORD dst_unused:UNUSED_PAD src0_sel:WORD_1 src1_sel:DWORD
	v_fma_f16 v4, v71, v4, -v6
	v_pack_b32_f16 v4, v5, v4
	ds_write2_b32 v58, v8, v4 offset1:108
	s_waitcnt vmcnt(16)
	v_lshrrev_b32_e32 v4, 16, v7
	v_mul_f16_sdwa v5, v68, v4 dst_sel:DWORD dst_unused:UNUSED_PAD src0_sel:WORD_1 src1_sel:DWORD
	v_mul_f16_sdwa v6, v68, v7 dst_sel:DWORD dst_unused:UNUSED_PAD src0_sel:WORD_1 src1_sel:DWORD
	v_fma_f16 v5, v68, v7, v5
	v_fma_f16 v4, v68, v4, -v6
	v_pack_b32_f16 v5, v5, v4
	s_waitcnt vmcnt(15)
	v_lshrrev_b32_e32 v4, 16, v11
	s_waitcnt vmcnt(14)
	v_mul_f16_sdwa v6, v69, v4 dst_sel:DWORD dst_unused:UNUSED_PAD src0_sel:WORD_1 src1_sel:DWORD
	v_mul_f16_sdwa v7, v69, v11 dst_sel:DWORD dst_unused:UNUSED_PAD src0_sel:WORD_1 src1_sel:DWORD
	v_fma_f16 v6, v69, v11, v6
	v_fma_f16 v4, v69, v4, -v7
	v_pack_b32_f16 v6, v6, v4
	s_waitcnt vmcnt(13)
	v_lshrrev_b32_e32 v4, 16, v13
	v_mul_f16_sdwa v7, v67, v4 dst_sel:DWORD dst_unused:UNUSED_PAD src0_sel:WORD_1 src1_sel:DWORD
	v_mul_f16_sdwa v8, v67, v13 dst_sel:DWORD dst_unused:UNUSED_PAD src0_sel:WORD_1 src1_sel:DWORD
	v_fma_f16 v7, v67, v13, v7
	v_fma_f16 v4, v67, v4, -v8
	v_pack_b32_f16 v7, v7, v4
	s_waitcnt vmcnt(12)
	v_lshrrev_b32_e32 v4, 16, v12
	v_mul_f16_sdwa v8, v66, v4 dst_sel:DWORD dst_unused:UNUSED_PAD src0_sel:WORD_1 src1_sel:DWORD
	v_mul_f16_sdwa v10, v66, v12 dst_sel:DWORD dst_unused:UNUSED_PAD src0_sel:WORD_1 src1_sel:DWORD
	v_fma_f16 v8, v66, v12, v8
	v_fma_f16 v4, v66, v4, -v10
	v_pack_b32_f16 v8, v8, v4
	v_add_u32_e32 v4, 0xa00, v58
	ds_write2_b32 v4, v5, v8 offset0:44 offset1:152
	s_waitcnt vmcnt(11)
	v_lshrrev_b32_e32 v5, 16, v16
	s_waitcnt vmcnt(10)
	v_mul_f16_sdwa v8, v65, v5 dst_sel:DWORD dst_unused:UNUSED_PAD src0_sel:WORD_1 src1_sel:DWORD
	v_mul_f16_sdwa v10, v65, v16 dst_sel:DWORD dst_unused:UNUSED_PAD src0_sel:WORD_1 src1_sel:DWORD
	v_fma_f16 v8, v65, v16, v8
	v_fma_f16 v5, v65, v5, -v10
	v_pack_b32_f16 v5, v8, v5
	v_add_u32_e32 v8, 0x1200, v58
	ds_write2_b32 v8, v6, v5 offset0:108 offset1:216
	s_waitcnt vmcnt(9)
	v_lshrrev_b32_e32 v5, 16, v14
	v_mul_f16_sdwa v6, v64, v5 dst_sel:DWORD dst_unused:UNUSED_PAD src0_sel:WORD_1 src1_sel:DWORD
	v_mul_f16_sdwa v8, v64, v14 dst_sel:DWORD dst_unused:UNUSED_PAD src0_sel:WORD_1 src1_sel:DWORD
	v_fma_f16 v6, v64, v14, v6
	v_fma_f16 v5, v64, v5, -v8
	v_pack_b32_f16 v6, v6, v5
	v_add_u32_e32 v5, 0x200, v58
	ds_write2_b32 v5, v7, v6 offset0:88 offset1:196
	s_waitcnt vmcnt(8)
	v_lshrrev_b32_e32 v6, 16, v15
	s_waitcnt vmcnt(7)
	v_mul_f16_sdwa v7, v63, v6 dst_sel:DWORD dst_unused:UNUSED_PAD src0_sel:WORD_1 src1_sel:DWORD
	v_mul_f16_sdwa v8, v63, v15 dst_sel:DWORD dst_unused:UNUSED_PAD src0_sel:WORD_1 src1_sel:DWORD
	v_fma_f16 v7, v63, v15, v7
	v_fma_f16 v6, v63, v6, -v8
	v_pack_b32_f16 v6, v7, v6
	s_waitcnt vmcnt(6)
	v_lshrrev_b32_e32 v7, 16, v17
	s_waitcnt vmcnt(5)
	v_mul_f16_sdwa v8, v62, v7 dst_sel:DWORD dst_unused:UNUSED_PAD src0_sel:WORD_1 src1_sel:DWORD
	v_mul_f16_sdwa v10, v62, v17 dst_sel:DWORD dst_unused:UNUSED_PAD src0_sel:WORD_1 src1_sel:DWORD
	v_fma_f16 v8, v62, v17, v8
	v_fma_f16 v7, v62, v7, -v10
	v_pack_b32_f16 v7, v8, v7
	s_waitcnt vmcnt(4)
	v_lshrrev_b32_e32 v8, 16, v18
	v_mul_f16_sdwa v10, v61, v8 dst_sel:DWORD dst_unused:UNUSED_PAD src0_sel:WORD_1 src1_sel:DWORD
	v_mul_f16_sdwa v11, v61, v18 dst_sel:DWORD dst_unused:UNUSED_PAD src0_sel:WORD_1 src1_sel:DWORD
	v_fma_f16 v10, v61, v18, v10
	v_fma_f16 v8, v61, v8, -v11
	v_pack_b32_f16 v8, v10, v8
	ds_write_b32 v58, v8 offset:1728
	s_waitcnt vmcnt(3)
	v_lshrrev_b32_e32 v8, 16, v19
	s_waitcnt vmcnt(2)
	v_mul_f16_sdwa v10, v60, v8 dst_sel:DWORD dst_unused:UNUSED_PAD src0_sel:WORD_1 src1_sel:DWORD
	v_mul_f16_sdwa v11, v60, v19 dst_sel:DWORD dst_unused:UNUSED_PAD src0_sel:WORD_1 src1_sel:DWORD
	v_fma_f16 v10, v60, v19, v10
	v_fma_f16 v8, v60, v8, -v11
	v_pack_b32_f16 v8, v10, v8
	v_add_u32_e32 v14, 0xc00, v58
	ds_write2_b32 v14, v6, v8 offset0:132 offset1:240
	s_waitcnt vmcnt(1)
	v_lshrrev_b32_e32 v6, 16, v9
	s_waitcnt vmcnt(0)
	v_mul_f16_sdwa v8, v59, v6 dst_sel:DWORD dst_unused:UNUSED_PAD src0_sel:WORD_1 src1_sel:DWORD
	v_fma_f16 v8, v59, v9, v8
	v_mul_f16_sdwa v9, v59, v9 dst_sel:DWORD dst_unused:UNUSED_PAD src0_sel:WORD_1 src1_sel:DWORD
	v_fma_f16 v6, v59, v6, -v9
	v_pack_b32_f16 v6, v8, v6
	v_add_u32_e32 v8, 0x1600, v58
	ds_write2_b32 v8, v7, v6 offset0:68 offset1:176
	s_and_saveexec_b64 s[16:17], s[0:1]
	s_cbranch_execz .LBB0_3
; %bb.2:
	v_mov_b32_e32 v6, s15
	v_add_co_u32_e32 v2, vcc, s14, v2
	v_addc_co_u32_e32 v3, vcc, v3, v6, vcc
	global_load_dword v6, v[2:3], off
	global_load_dword v7, v[39:40], off offset:2160
	v_mov_b32_e32 v8, s3
	v_add_co_u32_e32 v2, vcc, s2, v2
	v_addc_co_u32_e32 v3, vcc, v3, v8, vcc
	global_load_dword v9, v[2:3], off
	global_load_dword v10, v[0:1], off offset:368
	v_add_co_u32_e32 v2, vcc, s2, v2
	v_addc_co_u32_e32 v3, vcc, v3, v8, vcc
	global_load_dword v8, v[2:3], off
	global_load_dword v11, v[0:1], off offset:2672
	v_add_u32_e32 v0, 0x70, v58
	s_waitcnt vmcnt(5)
	v_lshrrev_b32_e32 v1, 16, v6
	s_waitcnt vmcnt(4)
	v_mul_f16_sdwa v2, v7, v6 dst_sel:DWORD dst_unused:UNUSED_PAD src0_sel:WORD_1 src1_sel:DWORD
	v_mul_f16_sdwa v3, v7, v1 dst_sel:DWORD dst_unused:UNUSED_PAD src0_sel:WORD_1 src1_sel:DWORD
	v_fma_f16 v1, v7, v1, -v2
	v_fma_f16 v3, v7, v6, v3
	v_pack_b32_f16 v1, v3, v1
	s_waitcnt vmcnt(3)
	v_lshrrev_b32_e32 v2, 16, v9
	s_waitcnt vmcnt(2)
	v_mul_f16_sdwa v12, v10, v9 dst_sel:DWORD dst_unused:UNUSED_PAD src0_sel:WORD_1 src1_sel:DWORD
	v_mul_f16_sdwa v6, v10, v2 dst_sel:DWORD dst_unused:UNUSED_PAD src0_sel:WORD_1 src1_sel:DWORD
	v_fma_f16 v2, v10, v2, -v12
	v_fma_f16 v3, v10, v9, v6
	s_waitcnt vmcnt(1)
	v_lshrrev_b32_e32 v7, 16, v8
	s_waitcnt vmcnt(0)
	v_mul_f16_sdwa v12, v11, v8 dst_sel:DWORD dst_unused:UNUSED_PAD src0_sel:WORD_1 src1_sel:DWORD
	v_mul_f16_sdwa v6, v11, v7 dst_sel:DWORD dst_unused:UNUSED_PAD src0_sel:WORD_1 src1_sel:DWORD
	v_fma_f16 v7, v11, v7, -v12
	v_pack_b32_f16 v2, v3, v2
	v_fma_f16 v3, v11, v8, v6
	ds_write2st64_b32 v0, v1, v2 offset0:8 offset1:17
	v_pack_b32_f16 v0, v3, v7
	ds_write_b32 v58, v0 offset:6768
.LBB0_3:
	s_or_b64 exec, exec, s[16:17]
	v_add_u32_e32 v0, 0x600, v58
	s_waitcnt lgkmcnt(0)
	s_barrier
	ds_read2_b32 v[12:13], v0 offset0:48 offset1:192
	v_add_u32_e32 v0, 0x1000, v58
	v_add_u32_e32 v2, 0x1400, v58
	ds_read2_b32 v[8:9], v58 offset1:108
	ds_read2_b32 v[10:11], v0 offset0:128 offset1:236
	ds_read2_b32 v[6:7], v4 offset0:44 offset1:152
	;; [unrolled: 1-line block ×5, first 2 shown]
	ds_read_b32 v17, v58 offset:6336
                                        ; implicit-def: $vgpr16
                                        ; implicit-def: $vgpr15
	s_and_saveexec_b64 s[2:3], s[0:1]
	s_cbranch_execz .LBB0_5
; %bb.4:
	v_add_u32_e32 v14, 0x70, v58
	ds_read2st64_b32 v[14:15], v14 offset0:8 offset1:17
	ds_read_b32 v16, v58 offset:6768
.LBB0_5:
	s_or_b64 exec, exec, s[2:3]
	s_movk_i32 s2, 0x21c
	v_add_co_u32_e32 v20, vcc, s2, v73
	s_waitcnt lgkmcnt(1)
	v_pk_add_f16 v24, v12, v5
	s_waitcnt lgkmcnt(0)
	v_pk_add_f16 v25, v5, v17
	v_pk_add_f16 v5, v5, v17 neg_lo:[0,1] neg_hi:[0,1]
	s_movk_i32 s2, 0x3aee
	v_pk_fma_f16 v12, v25, 0.5, v12 op_sel_hi:[1,0,1] neg_lo:[1,0,0] neg_hi:[1,0,0]
	v_pk_mul_f16 v5, v5, s2 op_sel_hi:[1,0]
	v_pk_add_f16 v29, v12, v5 op_sel:[0,1] op_sel_hi:[1,0]
	v_pk_add_f16 v30, v12, v5 op_sel:[0,1] op_sel_hi:[1,0] neg_lo:[0,1] neg_hi:[0,1]
	v_pk_add_f16 v5, v15, v14
	v_pk_add_f16 v27, v16, v5
	;; [unrolled: 1-line block ×3, first 2 shown]
	v_pk_fma_f16 v5, v5, 0.5, v14 op_sel_hi:[1,0,1] neg_lo:[1,0,0] neg_hi:[1,0,0]
	v_pk_add_f16 v12, v15, v16 neg_lo:[0,1] neg_hi:[0,1]
	v_pk_add_f16 v21, v8, v13
	v_pk_fma_f16 v26, v12, s2, v5 op_sel:[0,0,1] op_sel_hi:[1,0,0]
	v_pk_fma_f16 v28, v12, s2, v5 op_sel:[0,0,1] op_sel_hi:[1,0,0] neg_lo:[1,0,0] neg_hi:[1,0,0]
	v_mul_lo_u16_e32 v5, 3, v73
	v_lshlrev_b32_e32 v76, 2, v5
	v_pk_add_f16 v5, v21, v10
	v_pk_add_f16 v12, v13, v10
	v_pk_add_f16 v10, v13, v10 neg_lo:[0,1] neg_hi:[0,1]
	v_pk_fma_f16 v8, v12, 0.5, v8 op_sel_hi:[1,0,1] neg_lo:[1,0,0] neg_hi:[1,0,0]
	v_pk_mul_f16 v10, v10, s2 op_sel_hi:[1,0]
	v_pk_add_f16 v12, v8, v10 op_sel:[0,1] op_sel_hi:[1,0]
	v_pk_add_f16 v8, v8, v10 op_sel:[0,1] op_sel_hi:[1,0] neg_lo:[0,1] neg_hi:[0,1]
	s_mov_b32 s3, 0xffff
	v_bfi_b32 v10, s3, v12, v8
	v_pk_add_f16 v22, v9, v6
	s_barrier
	ds_write2_b32 v76, v5, v10 offset1:1
	v_bfi_b32 v5, s3, v8, v12
	v_pk_add_f16 v8, v6, v11
	v_pk_add_f16 v6, v6, v11 neg_lo:[0,1] neg_hi:[0,1]
	v_add_co_u32_e32 v36, vcc, 0x6c, v73
	v_pk_fma_f16 v8, v8, 0.5, v9 op_sel_hi:[1,0,1] neg_lo:[1,0,0] neg_hi:[1,0,0]
	v_pk_mul_f16 v6, v6, s2 op_sel_hi:[1,0]
	ds_write_b32 v76, v5 offset:8
	v_mul_u32_u24_e32 v5, 3, v36
	v_pk_add_f16 v9, v8, v6 op_sel:[0,1] op_sel_hi:[1,0]
	v_pk_add_f16 v6, v8, v6 op_sel:[0,1] op_sel_hi:[1,0] neg_lo:[0,1] neg_hi:[0,1]
	v_lshlrev_b32_e32 v77, 2, v5
	v_pk_add_f16 v5, v22, v11
	v_bfi_b32 v8, s3, v9, v6
	v_add_co_u32_e32 v37, vcc, 0xd8, v73
	ds_write2_b32 v77, v5, v8 offset1:1
	v_bfi_b32 v5, s3, v6, v9
	v_pk_add_f16 v23, v0, v7
	ds_write_b32 v77, v5 offset:8
	v_mul_u32_u24_e32 v5, 3, v37
	v_lshlrev_b32_e32 v78, 2, v5
	v_pk_add_f16 v5, v23, v2
	v_pk_add_f16 v6, v7, v2
	v_pk_add_f16 v2, v7, v2 neg_lo:[0,1] neg_hi:[0,1]
	v_pk_fma_f16 v0, v6, 0.5, v0 op_sel_hi:[1,0,1] neg_lo:[1,0,0] neg_hi:[1,0,0]
	v_pk_mul_f16 v2, v2, s2 op_sel_hi:[1,0]
	v_pk_add_f16 v6, v0, v2 op_sel:[0,1] op_sel_hi:[1,0]
	v_pk_add_f16 v0, v0, v2 op_sel:[0,1] op_sel_hi:[1,0] neg_lo:[0,1] neg_hi:[0,1]
	v_bfi_b32 v2, s3, v6, v0
	ds_write2_b32 v78, v5, v2 offset1:1
	v_pk_add_f16 v2, v4, v3
	v_add_u32_e32 v18, 0x144, v73
	v_pk_add_f16 v31, v1, v4
	v_bfi_b32 v0, s3, v0, v6
	v_pk_fma_f16 v1, v2, 0.5, v1 op_sel_hi:[1,0,1] neg_lo:[1,0,0] neg_hi:[1,0,0]
	v_pk_add_f16 v2, v4, v3 neg_lo:[0,1] neg_hi:[0,1]
	ds_write_b32 v78, v0 offset:8
	v_mul_u32_u24_e32 v0, 3, v18
	v_pk_mul_f16 v2, v2, s2 op_sel_hi:[1,0]
	s_load_dwordx2 s[4:5], s[4:5], 0x8
	v_lshlrev_b32_e32 v79, 2, v0
	v_pk_add_f16 v0, v31, v3
	v_pk_add_f16 v3, v1, v2 op_sel:[0,1] op_sel_hi:[1,0]
	v_pk_add_f16 v1, v1, v2 op_sel:[0,1] op_sel_hi:[1,0] neg_lo:[0,1] neg_hi:[0,1]
	v_bfi_b32 v2, s3, v3, v1
	v_add_u32_e32 v19, 0x1b0, v73
	ds_write2_b32 v79, v0, v2 offset1:1
	v_bfi_b32 v0, s3, v1, v3
	ds_write_b32 v79, v0 offset:8
	v_mul_u32_u24_e32 v0, 3, v19
	v_pk_add_f16 v24, v24, v17
	v_lshrrev_b32_e32 v25, 16, v26
	v_lshlrev_b32_e32 v81, 2, v0
	v_bfi_b32 v0, s3, v30, v29
	v_bfi_b32 v1, s3, v29, v30
	v_mul_u32_u24_e32 v80, 3, v20
	ds_write_b32 v81, v24
	ds_write2_b32 v81, v1, v0 offset0:1 offset1:2
	s_and_saveexec_b64 s[2:3], s[0:1]
	s_cbranch_execz .LBB0_7
; %bb.6:
	s_mov_b32 s14, 0x5040100
	v_lshlrev_b32_e32 v0, 2, v80
	v_perm_b32 v1, v28, v25, s14
	v_alignbit_b32 v2, v26, v28, 16
	ds_write_b32 v0, v27
	ds_write2_b32 v0, v1, v2 offset0:1 offset1:2
.LBB0_7:
	s_or_b64 exec, exec, s[2:3]
	v_add_u32_e32 v0, 0x400, v58
	s_waitcnt lgkmcnt(0)
	s_barrier
	ds_read2_b32 v[16:17], v0 offset0:32 offset1:140
	v_add_u32_e32 v0, 0x800, v58
	ds_read2_b32 v[18:19], v0 offset0:64 offset1:172
	v_add_u32_e32 v0, 0xc00, v58
	ds_read2_b32 v[20:21], v0 offset0:96 offset1:204
	v_add_u32_e32 v0, 0x1000, v58
	ds_read2_b32 v[22:23], v0 offset0:128 offset1:236
	v_add_u32_e32 v0, 0x1600, v58
	ds_read2_b32 v[12:13], v58 offset1:108
	ds_read2_b32 v[14:15], v0 offset0:32 offset1:140
	s_movk_i32 s2, 0x48
	v_lshrrev_b32_e32 v31, 16, v29
	v_cmp_gt_u16_e64 s[2:3], s2, v73
	s_and_saveexec_b64 s[14:15], s[2:3]
	s_cbranch_execz .LBB0_9
; %bb.8:
	ds_read_b32 v0, v58 offset:3168
	ds_read_b32 v25, v58 offset:5472
	;; [unrolled: 1-line block ×6, first 2 shown]
	s_mov_b32 s16, 0xffff
	s_waitcnt lgkmcnt(5)
	v_lshrrev_b32_e32 v31, 16, v0
	s_waitcnt lgkmcnt(3)
	v_lshrrev_b32_e32 v26, 16, v1
	v_alignbit_b32 v28, v1, v25, 16
	s_waitcnt lgkmcnt(1)
	v_bfi_b32 v30, s16, v0, v29
.LBB0_9:
	s_or_b64 exec, exec, s[14:15]
	s_movk_i32 s16, 0xab
	v_mul_lo_u16_sdwa v0, v73, s16 dst_sel:DWORD dst_unused:UNUSED_PAD src0_sel:BYTE_0 src1_sel:DWORD
	v_lshrrev_b16_e32 v54, 9, v0
	v_mul_lo_u16_e32 v0, 3, v54
	v_sub_u16_e32 v0, v73, v0
	s_mov_b32 s14, 0xaaab
	v_and_b32_e32 v55, 0xff, v0
	v_mul_u32_u24_sdwa v0, v37, s14 dst_sel:DWORD dst_unused:UNUSED_PAD src0_sel:WORD_0 src1_sel:DWORD
	v_lshrrev_b32_e32 v56, 17, v0
	v_mul_lo_u16_e32 v0, 3, v56
	v_sub_u16_e32 v57, v37, v0
	v_mul_lo_u16_e32 v0, 20, v57
	v_mad_u64_u32 v[34:35], s[14:15], v55, 20, s[4:5]
	v_mul_lo_u16_sdwa v4, v36, s16 dst_sel:DWORD dst_unused:UNUSED_PAD src0_sel:BYTE_0 src1_sel:DWORD
	v_mov_b32_e32 v1, s5
	v_add_co_u32_e32 v32, vcc, s4, v0
	v_lshrrev_b16_e32 v82, 9, v4
	v_addc_co_u32_e32 v33, vcc, 0, v1, vcc
	v_mul_lo_u16_e32 v4, 3, v82
	global_load_dwordx4 v[0:3], v[32:33], off
	global_load_dwordx4 v[8:11], v[34:35], off
	v_sub_u16_e32 v4, v36, v4
	v_and_b32_e32 v83, 0xff, v4
	v_mad_u64_u32 v[42:43], s[14:15], v83, 20, s[4:5]
	global_load_dwordx4 v[4:7], v[42:43], off
	global_load_dword v86, v[34:35], off offset:16
	global_load_dword v85, v[42:43], off offset:16
	;; [unrolled: 1-line block ×3, first 2 shown]
	v_lshrrev_b32_e32 v45, 16, v30
	s_waitcnt lgkmcnt(5)
	v_lshrrev_b32_e32 v32, 16, v16
	s_waitcnt lgkmcnt(0)
	v_lshrrev_b32_e32 v49, 16, v27
	v_lshrrev_b32_e32 v33, 16, v18
	;; [unrolled: 1-line block ×4, first 2 shown]
	s_movk_i32 s14, 0x3aee
	s_mov_b32 s15, 0xbaee
	v_lshrrev_b32_e32 v47, 16, v14
	v_lshrrev_b32_e32 v42, 16, v19
	;; [unrolled: 1-line block ×6, first 2 shown]
	s_waitcnt vmcnt(0)
	s_barrier
	v_mul_f16_sdwa v50, v45, v0 dst_sel:DWORD dst_unused:UNUSED_PAD src0_sel:DWORD src1_sel:WORD_1
	v_mul_f16_sdwa v51, v29, v0 dst_sel:DWORD dst_unused:UNUSED_PAD src0_sel:DWORD src1_sel:WORD_1
	v_fma_f16 v29, v29, v0, -v50
	v_mul_f16_sdwa v50, v32, v8 dst_sel:DWORD dst_unused:UNUSED_PAD src0_sel:DWORD src1_sel:WORD_1
	v_fma_f16 v45, v45, v0, v51
	v_mul_f16_sdwa v51, v16, v8 dst_sel:DWORD dst_unused:UNUSED_PAD src0_sel:DWORD src1_sel:WORD_1
	v_fma_f16 v16, v16, v8, -v50
	v_mul_f16_sdwa v50, v49, v2 dst_sel:DWORD dst_unused:UNUSED_PAD src0_sel:DWORD src1_sel:WORD_1
	v_fma_f16 v50, v27, v2, -v50
	v_mul_f16_sdwa v27, v27, v2 dst_sel:DWORD dst_unused:UNUSED_PAD src0_sel:DWORD src1_sel:WORD_1
	v_fma_f16 v27, v49, v2, v27
	v_mul_f16_sdwa v49, v28, v3 dst_sel:DWORD dst_unused:UNUSED_PAD src0_sel:DWORD src1_sel:WORD_1
	v_mul_f16_sdwa v52, v31, v1 dst_sel:DWORD dst_unused:UNUSED_PAD src0_sel:DWORD src1_sel:WORD_1
	v_fma_f16 v49, v25, v3, -v49
	v_mul_f16_sdwa v25, v25, v3 dst_sel:DWORD dst_unused:UNUSED_PAD src0_sel:DWORD src1_sel:WORD_1
	v_mul_f16_sdwa v53, v30, v1 dst_sel:DWORD dst_unused:UNUSED_PAD src0_sel:DWORD src1_sel:WORD_1
	v_fma_f16 v30, v30, v1, -v52
	v_mul_f16_sdwa v52, v33, v9 dst_sel:DWORD dst_unused:UNUSED_PAD src0_sel:DWORD src1_sel:WORD_1
	v_mul_f16_sdwa v95, v35, v11 dst_sel:DWORD dst_unused:UNUSED_PAD src0_sel:DWORD src1_sel:WORD_1
	v_fma_f16 v32, v32, v8, v51
	v_fma_f16 v25, v28, v3, v25
	v_lshrrev_b32_e32 v28, 16, v28
	v_mul_f16_sdwa v51, v26, v84 dst_sel:DWORD dst_unused:UNUSED_PAD src0_sel:DWORD src1_sel:WORD_1
	v_fma_f16 v31, v31, v1, v53
	v_mul_f16_sdwa v53, v18, v9 dst_sel:DWORD dst_unused:UNUSED_PAD src0_sel:DWORD src1_sel:WORD_1
	v_mul_f16_sdwa v97, v22, v11 dst_sel:DWORD dst_unused:UNUSED_PAD src0_sel:DWORD src1_sel:WORD_1
	v_fma_f16 v18, v18, v9, -v52
	v_fma_f16 v22, v22, v11, -v95
	;; [unrolled: 1-line block ×3, first 2 shown]
	v_mul_f16_sdwa v28, v28, v84 dst_sel:DWORD dst_unused:UNUSED_PAD src0_sel:DWORD src1_sel:WORD_1
	v_fma_f16 v33, v33, v9, v53
	v_fma_f16 v35, v35, v11, v97
	;; [unrolled: 1-line block ×3, first 2 shown]
	v_add_f16_e32 v28, v18, v22
	v_fma_f16 v28, v28, -0.5, v12
	v_sub_f16_e32 v52, v33, v35
	v_mul_f16_sdwa v87, v34, v10 dst_sel:DWORD dst_unused:UNUSED_PAD src0_sel:DWORD src1_sel:WORD_1
	v_fma_f16 v53, v52, s14, v28
	v_fma_f16 v28, v52, s15, v28
	v_lshrrev_b32_e32 v52, 16, v12
	v_mul_f16_sdwa v88, v20, v10 dst_sel:DWORD dst_unused:UNUSED_PAD src0_sel:DWORD src1_sel:WORD_1
	v_mul_f16_sdwa v100, v47, v86 dst_sel:DWORD dst_unused:UNUSED_PAD src0_sel:DWORD src1_sel:WORD_1
	v_fma_f16 v20, v20, v10, -v87
	v_add_f16_e32 v87, v52, v33
	v_add_f16_e32 v33, v33, v35
	v_mul_f16_sdwa v99, v14, v86 dst_sel:DWORD dst_unused:UNUSED_PAD src0_sel:DWORD src1_sel:WORD_1
	v_fma_f16 v14, v14, v86, -v100
	v_fma_f16 v33, v33, -0.5, v52
	v_add_f16_e32 v12, v12, v18
	v_sub_f16_e32 v18, v18, v22
	v_fma_f16 v34, v34, v10, v88
	v_fma_f16 v47, v47, v86, v99
	v_add_f16_e32 v12, v12, v22
	v_fma_f16 v22, v18, s15, v33
	v_fma_f16 v18, v18, s14, v33
	v_add_f16_e32 v33, v20, v14
	v_add_f16_e32 v87, v87, v35
	v_fma_f16 v33, v33, -0.5, v16
	v_sub_f16_e32 v35, v34, v47
	v_fma_f16 v52, v35, s14, v33
	v_fma_f16 v33, v35, s15, v33
	v_add_f16_e32 v35, v32, v34
	v_add_f16_e32 v34, v34, v47
	;; [unrolled: 1-line block ×3, first 2 shown]
	v_fma_f16 v32, v34, -0.5, v32
	v_add_f16_e32 v16, v16, v14
	v_sub_f16_e32 v14, v20, v14
	v_fma_f16 v20, v14, s15, v32
	v_mul_f16_e32 v34, 0xbaee, v52
	v_fma_f16 v14, v14, s14, v32
	v_mul_f16_e32 v32, 0x3aee, v20
	v_fma_f16 v20, v20, 0.5, v34
	v_mul_f16_e32 v34, -0.5, v33
	v_mul_f16_sdwa v91, v42, v5 dst_sel:DWORD dst_unused:UNUSED_PAD src0_sel:DWORD src1_sel:WORD_1
	v_mul_f16_sdwa v96, v44, v7 dst_sel:DWORD dst_unused:UNUSED_PAD src0_sel:DWORD src1_sel:WORD_1
	v_fma_f16 v34, v14, s14, v34
	v_mul_f16_e32 v14, -0.5, v14
	v_mul_f16_sdwa v89, v38, v4 dst_sel:DWORD dst_unused:UNUSED_PAD src0_sel:DWORD src1_sel:WORD_1
	v_mul_f16_sdwa v92, v19, v5 dst_sel:DWORD dst_unused:UNUSED_PAD src0_sel:DWORD src1_sel:WORD_1
	;; [unrolled: 1-line block ×3, first 2 shown]
	v_fma_f16 v19, v19, v5, -v91
	v_fma_f16 v23, v23, v7, -v96
	v_add_f16_e32 v35, v35, v47
	v_fma_f16 v14, v33, s15, v14
	v_mul_f16_sdwa v90, v17, v4 dst_sel:DWORD dst_unused:UNUSED_PAD src0_sel:DWORD src1_sel:WORD_1
	v_fma_f16 v17, v17, v4, -v89
	v_fma_f16 v42, v42, v5, v92
	v_fma_f16 v44, v44, v7, v98
	v_add_f16_e32 v89, v28, v34
	v_sub_f16_e32 v28, v28, v34
	v_add_f16_e32 v34, v87, v35
	v_sub_f16_e32 v35, v87, v35
	;; [unrolled: 2-line block ×4, first 2 shown]
	v_add_f16_e32 v18, v19, v23
	v_fma_f16 v32, v52, 0.5, v32
	v_fma_f16 v18, v18, -0.5, v13
	v_lshrrev_b32_e32 v47, 16, v13
	v_sub_f16_e32 v52, v42, v44
	v_mul_f16_sdwa v93, v43, v6 dst_sel:DWORD dst_unused:UNUSED_PAD src0_sel:DWORD src1_sel:WORD_1
	v_mul_f16_sdwa v101, v48, v85 dst_sel:DWORD dst_unused:UNUSED_PAD src0_sel:DWORD src1_sel:WORD_1
	v_add_f16_e32 v33, v12, v16
	v_sub_f16_e32 v12, v12, v16
	v_add_f16_e32 v16, v53, v32
	v_sub_f16_e32 v32, v53, v32
	v_fma_f16 v53, v52, s14, v18
	v_fma_f16 v18, v52, s15, v18
	v_add_f16_e32 v52, v47, v42
	v_add_f16_e32 v42, v42, v44
	v_mul_f16_sdwa v94, v21, v6 dst_sel:DWORD dst_unused:UNUSED_PAD src0_sel:DWORD src1_sel:WORD_1
	v_mul_f16_sdwa v102, v15, v85 dst_sel:DWORD dst_unused:UNUSED_PAD src0_sel:DWORD src1_sel:WORD_1
	v_fma_f16 v21, v21, v6, -v93
	v_fma_f16 v15, v15, v85, -v101
	v_add_f16_e32 v13, v13, v19
	v_fma_f16 v42, v42, -0.5, v47
	v_sub_f16_e32 v19, v19, v23
	v_fma_f16 v43, v43, v6, v94
	v_fma_f16 v48, v48, v85, v102
	v_add_f16_e32 v13, v13, v23
	v_fma_f16 v23, v19, s15, v42
	v_fma_f16 v19, v19, s14, v42
	v_add_f16_e32 v42, v21, v15
	v_fma_f16 v38, v38, v4, v90
	v_add_f16_e32 v52, v52, v44
	v_fma_f16 v42, v42, -0.5, v17
	v_sub_f16_e32 v44, v43, v48
	v_fma_f16 v47, v44, s14, v42
	v_fma_f16 v42, v44, s15, v42
	v_add_f16_e32 v44, v38, v43
	v_add_f16_e32 v43, v43, v48
	;; [unrolled: 1-line block ×3, first 2 shown]
	v_fma_f16 v38, v43, -0.5, v38
	v_add_f16_e32 v17, v17, v15
	v_sub_f16_e32 v15, v21, v15
	v_fma_f16 v21, v15, s15, v38
	v_mul_f16_e32 v43, 0xbaee, v47
	v_fma_f16 v15, v15, s14, v38
	v_mul_f16_e32 v38, 0x3aee, v21
	v_fma_f16 v21, v21, 0.5, v43
	v_mul_f16_e32 v43, -0.5, v42
	v_fma_f16 v43, v15, s14, v43
	v_mul_f16_e32 v15, -0.5, v15
	v_fma_f16 v15, v42, s15, v15
	v_fma_f16 v38, v47, 0.5, v38
	v_add_f16_e32 v95, v23, v21
	v_sub_f16_e32 v21, v23, v21
	v_add_f16_e32 v23, v19, v15
	v_sub_f16_e32 v15, v19, v15
	v_add_f16_e32 v19, v30, v49
	v_add_f16_e32 v90, v13, v17
	v_sub_f16_e32 v13, v13, v17
	v_add_f16_e32 v17, v53, v38
	v_sub_f16_e32 v91, v53, v38
	v_fma_f16 v19, v19, -0.5, v24
	v_sub_f16_e32 v38, v31, v25
	v_fma_f16 v42, v38, s14, v19
	v_fma_f16 v19, v38, s15, v19
	v_lshrrev_b32_e32 v38, 16, v24
	v_add_f16_e32 v92, v18, v43
	v_sub_f16_e32 v18, v18, v43
	v_add_f16_e32 v43, v38, v31
	v_add_f16_e32 v47, v43, v25
	;; [unrolled: 1-line block ×3, first 2 shown]
	v_fma_f16 v25, v25, -0.5, v38
	v_add_f16_e32 v24, v24, v30
	v_sub_f16_e32 v30, v30, v49
	v_fma_f16 v31, v30, s15, v25
	v_fma_f16 v25, v30, s14, v25
	v_add_f16_e32 v30, v50, v51
	v_fma_f16 v30, v30, -0.5, v29
	v_sub_f16_e32 v38, v27, v26
	v_fma_f16 v43, v38, s14, v30
	v_fma_f16 v30, v38, s15, v30
	v_add_f16_e32 v38, v45, v27
	v_add_f16_e32 v44, v44, v48
	;; [unrolled: 1-line block ×4, first 2 shown]
	v_fma_f16 v26, v26, -0.5, v45
	v_add_f16_e32 v27, v29, v50
	v_sub_f16_e32 v29, v50, v51
	v_fma_f16 v38, v29, s15, v26
	v_fma_f16 v26, v29, s14, v26
	v_mul_f16_e32 v29, 0x3aee, v38
	v_fma_f16 v29, v43, 0.5, v29
	v_mul_f16_e32 v43, 0xbaee, v43
	v_fma_f16 v53, v38, 0.5, v43
	v_mul_f16_e32 v38, -0.5, v30
	v_fma_f16 v45, v26, s14, v38
	v_add_f16_e32 v27, v27, v51
	v_add_f16_e32 v51, v19, v45
	v_sub_f16_e32 v45, v19, v45
	v_mul_u32_u24_e32 v19, 18, v54
	v_add_lshl_u32 v88, v19, v55, 2
	v_pack_b32_f16 v19, v33, v34
	v_pack_b32_f16 v16, v16, v87
	ds_write2_b32 v88, v19, v16 offset1:3
	v_pack_b32_f16 v16, v89, v22
	v_pack_b32_f16 v12, v12, v35
	ds_write2_b32 v88, v16, v12 offset0:6 offset1:9
	v_pack_b32_f16 v12, v32, v20
	v_pack_b32_f16 v14, v28, v14
	v_add_f16_e32 v93, v52, v44
	ds_write2_b32 v88, v12, v14 offset0:12 offset1:15
	v_mul_u32_u24_e32 v12, 18, v82
	v_sub_f16_e32 v94, v52, v44
	v_mul_f16_e32 v26, -0.5, v26
	v_add_lshl_u32 v89, v12, v83, 2
	v_pack_b32_f16 v12, v90, v93
	v_pack_b32_f16 v14, v17, v95
	v_add_f16_e32 v24, v24, v49
	v_fma_f16 v26, v30, s15, v26
	ds_write2_b32 v89, v12, v14 offset1:3
	v_pack_b32_f16 v12, v92, v23
	v_pack_b32_f16 v13, v13, v94
	v_add_f16_e32 v38, v24, v27
	v_sub_f16_e32 v43, v24, v27
	v_add_f16_e32 v50, v42, v29
	v_sub_f16_e32 v44, v42, v29
	;; [unrolled: 2-line block ×5, first 2 shown]
	ds_write2_b32 v89, v12, v13 offset0:6 offset1:9
	v_pack_b32_f16 v12, v91, v21
	v_pack_b32_f16 v13, v18, v15
	v_mad_legacy_u16 v90, v56, 18, v57
	ds_write2_b32 v89, v12, v13 offset0:12 offset1:15
	s_and_saveexec_b64 s[14:15], s[2:3]
	s_cbranch_execz .LBB0_11
; %bb.10:
	s_mov_b32 s16, 0x5040100
	v_lshlrev_b32_e32 v12, 2, v90
	v_perm_b32 v13, v42, v38, s16
	v_perm_b32 v14, v52, v50, s16
	ds_write2_b32 v12, v13, v14 offset1:3
	v_perm_b32 v13, v53, v51, s16
	v_perm_b32 v14, v49, v43, s16
	ds_write2_b32 v12, v13, v14 offset0:6 offset1:9
	v_perm_b32 v13, v47, v44, s16
	v_perm_b32 v14, v48, v45, s16
	ds_write2_b32 v12, v13, v14 offset0:12 offset1:15
.LBB0_11:
	s_or_b64 exec, exec, s[14:15]
	v_add_u32_e32 v12, 0x400, v58
	s_waitcnt lgkmcnt(0)
	s_barrier
	ds_read2_b32 v[26:27], v12 offset0:32 offset1:140
	v_add_u32_e32 v12, 0x800, v58
	ds_read2_b32 v[28:29], v12 offset0:64 offset1:172
	v_add_u32_e32 v12, 0xc00, v58
	;; [unrolled: 2-line block ×4, first 2 shown]
	ds_read2_b32 v[24:25], v58 offset1:108
	ds_read2_b32 v[34:35], v12 offset0:32 offset1:140
	s_and_saveexec_b64 s[14:15], s[2:3]
	s_cbranch_execz .LBB0_13
; %bb.12:
	ds_read_b32 v38, v58 offset:864
	ds_read_b32 v50, v58 offset:2016
	;; [unrolled: 1-line block ×6, first 2 shown]
	s_waitcnt lgkmcnt(5)
	v_lshrrev_b32_e32 v42, 16, v38
	s_waitcnt lgkmcnt(4)
	v_lshrrev_b32_e32 v52, 16, v50
	s_waitcnt lgkmcnt(3)
	v_lshrrev_b32_e32 v53, 16, v51
	s_waitcnt lgkmcnt(2)
	v_lshrrev_b32_e32 v49, 16, v43
	s_waitcnt lgkmcnt(1)
	v_lshrrev_b32_e32 v47, 16, v44
	s_waitcnt lgkmcnt(0)
	v_lshrrev_b32_e32 v48, 16, v45
.LBB0_13:
	s_or_b64 exec, exec, s[14:15]
	v_mov_b32_e32 v16, 57
	v_mul_lo_u16_sdwa v12, v73, v16 dst_sel:DWORD dst_unused:UNUSED_PAD src0_sel:BYTE_0 src1_sel:DWORD
	s_mov_b32 s14, 0xe38f
	v_lshrrev_b16_e32 v93, 10, v12
	v_mul_u32_u24_sdwa v12, v37, s14 dst_sel:DWORD dst_unused:UNUSED_PAD src0_sel:WORD_0 src1_sel:DWORD
	v_mul_lo_u16_e32 v17, 18, v93
	v_lshrrev_b32_e32 v82, 20, v12
	v_mul_lo_u16_e32 v12, 18, v82
	v_sub_u16_e32 v17, v73, v17
	v_mul_lo_u16_sdwa v16, v36, v16 dst_sel:DWORD dst_unused:UNUSED_PAD src0_sel:BYTE_0 src1_sel:DWORD
	v_sub_u16_e32 v83, v37, v12
	v_and_b32_e32 v94, 0xff, v17
	v_lshrrev_b16_e32 v98, 10, v16
	v_mul_lo_u16_e32 v12, 20, v83
	v_mad_u64_u32 v[56:57], s[14:15], v94, 20, s[4:5]
	v_mul_lo_u16_e32 v16, 18, v98
	v_mov_b32_e32 v13, s5
	v_add_co_u32_e32 v54, vcc, s4, v12
	v_sub_u16_e32 v16, v36, v16
	v_addc_co_u32_e32 v55, vcc, 0, v13, vcc
	v_and_b32_e32 v99, 0xff, v16
	global_load_dwordx4 v[12:15], v[54:55], off offset:60
	global_load_dwordx4 v[20:23], v[56:57], off offset:60
	v_mad_u64_u32 v[36:37], s[14:15], v99, 20, s[4:5]
	global_load_dword v92, v[56:57], off offset:76
	global_load_dwordx4 v[16:19], v[36:37], off offset:60
	global_load_dword v91, v[36:37], off offset:76
	global_load_dword v87, v[54:55], off offset:76
	s_waitcnt lgkmcnt(5)
	v_lshrrev_b32_e32 v55, 16, v26
	s_waitcnt lgkmcnt(4)
	v_lshrrev_b32_e32 v56, 16, v28
	;; [unrolled: 2-line block ×3, first 2 shown]
	v_lshrrev_b32_e32 v100, 16, v27
	v_lshrrev_b32_e32 v101, 16, v29
	s_waitcnt lgkmcnt(2)
	v_lshrrev_b32_e32 v95, 16, v32
	s_waitcnt lgkmcnt(0)
	v_lshrrev_b32_e32 v96, 16, v34
	v_lshrrev_b32_e32 v102, 16, v31
	;; [unrolled: 1-line block ×3, first 2 shown]
	s_movk_i32 s14, 0x3aee
	s_mov_b32 s15, 0xbaee
	v_lshrrev_b32_e32 v103, 16, v33
	v_lshrrev_b32_e32 v104, 16, v35
	;; [unrolled: 1-line block ×3, first 2 shown]
	v_mul_u32_u24_e32 v93, 0x6c, v93
	v_add_lshl_u32 v93, v93, v94, 2
	s_waitcnt vmcnt(0)
	s_barrier
	s_movk_i32 s16, 0x6c
	v_mul_f16_sdwa v36, v52, v12 dst_sel:DWORD dst_unused:UNUSED_PAD src0_sel:DWORD src1_sel:WORD_1
	v_mul_f16_sdwa v37, v50, v12 dst_sel:DWORD dst_unused:UNUSED_PAD src0_sel:DWORD src1_sel:WORD_1
	;; [unrolled: 1-line block ×4, first 2 shown]
	v_fma_f16 v36, v50, v12, -v36
	v_fma_f16 v50, v52, v12, v37
	v_fma_f16 v37, v51, v13, -v105
	v_fma_f16 v51, v53, v13, v106
	v_mul_f16_sdwa v52, v55, v20 dst_sel:DWORD dst_unused:UNUSED_PAD src0_sel:DWORD src1_sel:WORD_1
	v_mul_f16_sdwa v53, v26, v20 dst_sel:DWORD dst_unused:UNUSED_PAD src0_sel:DWORD src1_sel:WORD_1
	;; [unrolled: 1-line block ×12, first 2 shown]
	v_fma_f16 v52, v26, v20, -v52
	v_fma_f16 v53, v55, v20, v53
	v_fma_f16 v55, v28, v21, -v105
	v_fma_f16 v56, v56, v21, v106
	;; [unrolled: 2-line block ×3, first 2 shown]
	v_fma_f16 v106, v27, v16, -v113
	v_fma_f16 v107, v29, v17, -v115
	v_mul_f16_sdwa v26, v49, v14 dst_sel:DWORD dst_unused:UNUSED_PAD src0_sel:DWORD src1_sel:WORD_1
	v_mul_f16_sdwa v27, v43, v14 dst_sel:DWORD dst_unused:UNUSED_PAD src0_sel:DWORD src1_sel:WORD_1
	;; [unrolled: 1-line block ×6, first 2 shown]
	v_fma_f16 v32, v32, v23, -v109
	v_fma_f16 v34, v34, v92, -v111
	;; [unrolled: 1-line block ×3, first 2 shown]
	v_fma_f16 v28, v49, v14, v27
	v_mul_f16_sdwa v27, v47, v15 dst_sel:DWORD dst_unused:UNUSED_PAD src0_sel:DWORD src1_sel:WORD_1
	v_fma_f16 v30, v47, v15, v29
	v_add_f16_e32 v43, v24, v55
	v_add_f16_e32 v47, v56, v95
	v_mul_f16_sdwa v118, v31, v18 dst_sel:DWORD dst_unused:UNUSED_PAD src0_sel:DWORD src1_sel:WORD_1
	v_fma_f16 v57, v57, v22, v108
	v_fma_f16 v96, v96, v92, v112
	v_fma_f16 v108, v31, v18, -v117
	v_fma_f16 v27, v44, v15, -v27
	v_mul_f16_sdwa v31, v45, v87 dst_sel:DWORD dst_unused:UNUSED_PAD src0_sel:DWORD src1_sel:WORD_1
	v_add_f16_e32 v43, v43, v32
	v_add_f16_e32 v44, v55, v32
	v_fma_f16 v47, v47, -0.5, v54
	v_sub_f16_e32 v32, v55, v32
	v_add_f16_e32 v49, v105, v34
	v_mul_f16_sdwa v29, v48, v87 dst_sel:DWORD dst_unused:UNUSED_PAD src0_sel:DWORD src1_sel:WORD_1
	v_fma_f16 v31, v48, v87, v31
	v_fma_f16 v24, v44, -0.5, v24
	v_sub_f16_e32 v44, v56, v95
	v_fma_f16 v48, v32, s15, v47
	v_fma_f16 v32, v32, s14, v47
	v_add_f16_e32 v47, v52, v105
	v_fma_f16 v49, v49, -0.5, v52
	v_sub_f16_e32 v52, v57, v96
	v_add_f16_e32 v55, v57, v96
	v_fma_f16 v29, v45, v87, -v29
	v_fma_f16 v45, v44, s14, v24
	v_fma_f16 v24, v44, s15, v24
	v_add_f16_e32 v44, v54, v56
	v_add_f16_e32 v47, v47, v34
	v_fma_f16 v54, v52, s14, v49
	v_fma_f16 v49, v52, s15, v49
	v_add_f16_e32 v52, v53, v57
	v_fma_f16 v53, v55, -0.5, v53
	v_sub_f16_e32 v34, v105, v34
	v_fma_f16 v55, v34, s15, v53
	v_add_f16_e32 v44, v44, v95
	v_fma_f16 v34, v34, s14, v53
	v_mul_f16_e32 v56, 0x3aee, v55
	v_mul_f16_e32 v95, -0.5, v49
	v_mul_f16_sdwa v119, v103, v19 dst_sel:DWORD dst_unused:UNUSED_PAD src0_sel:DWORD src1_sel:WORD_1
	v_mul_f16_sdwa v120, v33, v19 dst_sel:DWORD dst_unused:UNUSED_PAD src0_sel:DWORD src1_sel:WORD_1
	v_fma_f16 v56, v54, 0.5, v56
	v_fma_f16 v95, v34, s14, v95
	v_mul_f16_e32 v54, 0xbaee, v54
	v_mul_f16_e32 v34, -0.5, v34
	v_mul_f16_sdwa v121, v104, v91 dst_sel:DWORD dst_unused:UNUSED_PAD src0_sel:DWORD src1_sel:WORD_1
	v_fma_f16 v101, v101, v17, v116
	v_fma_f16 v33, v33, v19, -v119
	v_fma_f16 v103, v103, v19, v120
	v_fma_f16 v54, v55, 0.5, v54
	v_fma_f16 v34, v49, s15, v34
	v_mul_f16_sdwa v122, v35, v91 dst_sel:DWORD dst_unused:UNUSED_PAD src0_sel:DWORD src1_sel:WORD_1
	v_fma_f16 v35, v35, v91, -v121
	v_add_f16_e32 v53, v43, v47
	v_add_f16_e32 v105, v24, v95
	;; [unrolled: 1-line block ×4, first 2 shown]
	v_sub_f16_e32 v47, v43, v47
	v_sub_f16_e32 v110, v24, v95
	;; [unrolled: 1-line block ×4, first 2 shown]
	v_add_f16_e32 v24, v25, v107
	v_add_f16_e32 v32, v107, v33
	;; [unrolled: 1-line block ×3, first 2 shown]
	v_fma_f16 v102, v102, v18, v118
	v_fma_f16 v104, v104, v91, v122
	v_add_f16_e32 v52, v52, v96
	v_add_f16_e32 v57, v45, v56
	v_sub_f16_e32 v56, v45, v56
	v_add_f16_e32 v24, v24, v33
	v_fma_f16 v25, v32, -0.5, v25
	v_sub_f16_e32 v32, v101, v103
	v_fma_f16 v43, v43, -0.5, v97
	v_sub_f16_e32 v33, v107, v33
	v_add_f16_e32 v45, v108, v35
	v_fma_f16 v100, v100, v16, v114
	v_add_f16_e32 v109, v44, v52
	v_sub_f16_e32 v52, v44, v52
	v_fma_f16 v34, v32, s14, v25
	v_fma_f16 v25, v32, s15, v25
	v_add_f16_e32 v32, v97, v101
	v_fma_f16 v44, v33, s15, v43
	v_fma_f16 v33, v33, s14, v43
	v_add_f16_e32 v43, v106, v108
	v_fma_f16 v45, v45, -0.5, v106
	v_sub_f16_e32 v95, v102, v104
	v_add_f16_e32 v97, v102, v104
	v_add_f16_e32 v43, v43, v35
	v_fma_f16 v96, v95, s14, v45
	v_fma_f16 v45, v95, s15, v45
	v_fma_f16 v97, v97, -0.5, v100
	v_sub_f16_e32 v35, v108, v35
	v_add_f16_e32 v32, v32, v103
	v_add_f16_e32 v95, v100, v102
	v_fma_f16 v100, v35, s15, v97
	v_fma_f16 v35, v35, s14, v97
	v_mul_f16_e32 v103, -0.5, v45
	v_add_f16_e32 v95, v95, v104
	v_add_f16_e32 v101, v24, v43
	v_fma_f16 v103, v35, s14, v103
	v_sub_f16_e32 v108, v24, v43
	v_add_f16_e32 v24, v37, v27
	v_mul_f16_e32 v97, 0x3aee, v100
	v_add_f16_e32 v104, v25, v103
	v_add_f16_e32 v106, v32, v95
	v_mul_f16_e32 v35, -0.5, v35
	v_sub_f16_e32 v103, v25, v103
	v_sub_f16_e32 v112, v32, v95
	v_fma_f16 v25, v24, -0.5, v38
	v_sub_f16_e32 v32, v51, v30
	v_fma_f16 v97, v96, 0.5, v97
	v_fma_f16 v35, v45, s15, v35
	v_fma_f16 v24, v32, s14, v25
	;; [unrolled: 1-line block ×3, first 2 shown]
	v_add_f16_e32 v32, v51, v30
	v_add_f16_e32 v102, v34, v97
	;; [unrolled: 1-line block ×3, first 2 shown]
	v_sub_f16_e32 v111, v34, v97
	v_sub_f16_e32 v114, v33, v35
	v_fma_f16 v33, v32, -0.5, v42
	v_sub_f16_e32 v34, v37, v27
	v_fma_f16 v32, v34, s15, v33
	v_fma_f16 v33, v34, s14, v33
	v_add_f16_e32 v34, v26, v29
	v_fma_f16 v34, v34, -0.5, v36
	v_sub_f16_e32 v35, v28, v31
	v_mul_f16_e32 v96, 0xbaee, v96
	v_fma_f16 v43, v35, s14, v34
	v_fma_f16 v45, v35, s15, v34
	v_add_f16_e32 v34, v28, v31
	v_fma_f16 v96, v100, 0.5, v96
	v_fma_f16 v34, v34, -0.5, v50
	v_sub_f16_e32 v35, v26, v29
	v_add_f16_e32 v100, v44, v96
	v_sub_f16_e32 v113, v44, v96
	v_fma_f16 v44, v35, s15, v34
	v_pack_b32_f16 v49, v105, v49
	v_pack_b32_f16 v47, v47, v52
	v_fma_f16 v95, v35, s14, v34
	v_mul_f16_e32 v34, 0x3aee, v44
	ds_write2_b32 v93, v49, v47 offset0:36 offset1:54
	v_pack_b32_f16 v47, v56, v48
	v_pack_b32_f16 v48, v110, v54
	v_fma_f16 v34, v43, 0.5, v34
	v_mul_f16_e32 v43, 0xbaee, v43
	ds_write2_b32 v93, v47, v48 offset0:72 offset1:90
	v_mul_u32_u24_e32 v47, 0x6c, v98
	v_mul_f16_e32 v35, -0.5, v45
	v_fma_f16 v44, v44, 0.5, v43
	v_mul_f16_e32 v43, -0.5, v95
	v_pack_b32_f16 v53, v53, v109
	v_pack_b32_f16 v55, v57, v55
	v_add_lshl_u32 v94, v47, v99, 2
	v_pack_b32_f16 v47, v101, v106
	v_pack_b32_f16 v48, v102, v100
	v_fma_f16 v35, v95, s14, v35
	v_fma_f16 v45, v45, s15, v43
	ds_write2_b32 v93, v53, v55 offset1:18
	ds_write2_b32 v94, v47, v48 offset1:18
	v_pack_b32_f16 v47, v104, v107
	v_pack_b32_f16 v48, v108, v112
	v_sub_f16_e32 v43, v24, v34
	v_sub_f16_e32 v95, v25, v35
	;; [unrolled: 1-line block ×4, first 2 shown]
	ds_write2_b32 v94, v47, v48 offset0:36 offset1:54
	v_pack_b32_f16 v47, v111, v113
	v_pack_b32_f16 v48, v103, v114
	ds_write2_b32 v94, v47, v48 offset0:72 offset1:90
	s_and_saveexec_b64 s[14:15], s[2:3]
	s_cbranch_execz .LBB0_15
; %bb.14:
	v_add_f16_e32 v42, v42, v51
	v_add_f16_e32 v28, v50, v28
	;; [unrolled: 1-line block ×8, first 2 shown]
	v_sub_f16_e32 v31, v30, v28
	v_sub_f16_e32 v29, v27, v26
	v_add_f16_e32 v32, v32, v44
	v_add_f16_e32 v28, v30, v28
	;; [unrolled: 1-line block ×4, first 2 shown]
	v_mad_legacy_u16 v27, v82, s16, v83
	v_add_f16_e32 v33, v33, v45
	v_add_f16_e32 v25, v25, v35
	v_lshlrev_b32_e32 v27, 2, v27
	v_pack_b32_f16 v26, v26, v28
	v_pack_b32_f16 v24, v24, v32
	ds_write2_b32 v27, v26, v24 offset1:18
	v_pack_b32_f16 v24, v25, v33
	v_pack_b32_f16 v25, v29, v31
	s_mov_b32 s16, 0x5040100
	ds_write2_b32 v27, v24, v25 offset0:36 offset1:54
	v_perm_b32 v24, v96, v43, s16
	v_perm_b32 v25, v97, v95, s16
	ds_write2_b32 v27, v24, v25 offset0:72 offset1:90
.LBB0_15:
	s_or_b64 exec, exec, s[14:15]
	v_mad_u64_u32 v[99:100], s[4:5], v73, 60, s[4:5]
	s_waitcnt lgkmcnt(0)
	s_barrier
	global_load_dwordx4 v[24:27], v[99:100], off offset:420
	ds_read2_b32 v[44:45], v58 offset1:108
	v_add_u32_e32 v47, 0x200, v58
	ds_read2_b32 v[28:29], v47 offset0:88 offset1:196
	v_add_u32_e32 v48, 0x600, v58
	ds_read2_b32 v[31:32], v48 offset0:48 offset1:156
	s_waitcnt lgkmcnt(2)
	v_lshrrev_b32_e32 v30, 16, v45
	v_add_u32_e32 v52, 0x800, v58
	s_waitcnt lgkmcnt(1)
	v_lshrrev_b32_e32 v57, 16, v28
	v_lshrrev_b32_e32 v101, 16, v29
	s_waitcnt lgkmcnt(0)
	v_lshrrev_b32_e32 v102, 16, v31
	ds_read2_b32 v[33:34], v52 offset0:136 offset1:244
	v_lshrrev_b32_e32 v103, 16, v32
	v_add_u32_e32 v49, 0xc00, v58
	ds_read2_b32 v[35:36], v49 offset0:96 offset1:204
	v_add_u32_e32 v50, 0x1000, v58
	s_waitcnt lgkmcnt(1)
	v_lshrrev_b32_e32 v104, 16, v33
	v_lshrrev_b32_e32 v105, 16, v34
	ds_read2_b32 v[37:38], v50 offset0:56 offset1:164
	s_waitcnt lgkmcnt(1)
	v_lshrrev_b32_e32 v106, 16, v35
	v_lshrrev_b32_e32 v107, 16, v36
	v_add_u32_e32 v98, 0x1400, v58
	ds_read2_b32 v[53:54], v98 offset0:16 offset1:124
	s_waitcnt lgkmcnt(1)
	v_lshrrev_b32_e32 v108, 16, v37
	v_lshrrev_b32_e32 v109, 16, v38
	v_add_u32_e32 v51, 0x1600, v58
	ds_read2_b32 v[55:56], v51 offset0:104 offset1:212
	s_waitcnt lgkmcnt(1)
	v_lshrrev_b32_e32 v110, 16, v53
	v_lshrrev_b32_e32 v111, 16, v54
	;; [unrolled: 1-line block ×3, first 2 shown]
	s_mov_b32 s4, 0xb9a8
	s_waitcnt lgkmcnt(0)
	v_lshrrev_b32_e32 v112, 16, v55
	v_lshrrev_b32_e32 v113, 16, v56
	s_movk_i32 s5, 0x39a8
	s_mov_b32 s15, 0xbb64
	s_mov_b32 s16, 0xb61f
	s_movk_i32 s17, 0x361f
	s_movk_i32 s18, 0x3b64
	s_add_u32 s12, s12, 0x1b00
	s_addc_u32 s13, s13, 0
	s_movk_i32 s14, 0x1000
	s_waitcnt vmcnt(0)
	v_mul_f16_sdwa v114, v30, v24 dst_sel:DWORD dst_unused:UNUSED_PAD src0_sel:DWORD src1_sel:WORD_1
	v_fma_f16 v114, v45, v24, -v114
	v_mul_f16_sdwa v45, v45, v24 dst_sel:DWORD dst_unused:UNUSED_PAD src0_sel:DWORD src1_sel:WORD_1
	v_fma_f16 v45, v30, v24, v45
	v_mul_f16_sdwa v30, v57, v25 dst_sel:DWORD dst_unused:UNUSED_PAD src0_sel:DWORD src1_sel:WORD_1
	v_fma_f16 v115, v28, v25, -v30
	v_mul_f16_sdwa v28, v28, v25 dst_sel:DWORD dst_unused:UNUSED_PAD src0_sel:DWORD src1_sel:WORD_1
	v_fma_f16 v57, v57, v25, v28
	;; [unrolled: 4-line block ×4, first 2 shown]
	global_load_dwordx4 v[28:31], v[99:100], off offset:436
	s_waitcnt vmcnt(0)
	v_mul_f16_sdwa v118, v103, v28 dst_sel:DWORD dst_unused:UNUSED_PAD src0_sel:DWORD src1_sel:WORD_1
	v_fma_f16 v118, v32, v28, -v118
	v_mul_f16_sdwa v32, v32, v28 dst_sel:DWORD dst_unused:UNUSED_PAD src0_sel:DWORD src1_sel:WORD_1
	v_fma_f16 v103, v103, v28, v32
	v_mul_f16_sdwa v32, v104, v29 dst_sel:DWORD dst_unused:UNUSED_PAD src0_sel:DWORD src1_sel:WORD_1
	v_fma_f16 v119, v33, v29, -v32
	v_mul_f16_sdwa v32, v33, v29 dst_sel:DWORD dst_unused:UNUSED_PAD src0_sel:DWORD src1_sel:WORD_1
	v_fma_f16 v104, v104, v29, v32
	;; [unrolled: 4-line block ×4, first 2 shown]
	global_load_dwordx4 v[32:35], v[99:100], off offset:452
	v_sub_f16_e32 v106, v42, v106
	v_fma_f16 v42, v42, 2.0, -v106
	s_waitcnt vmcnt(0)
	v_mul_f16_sdwa v122, v107, v32 dst_sel:DWORD dst_unused:UNUSED_PAD src0_sel:DWORD src1_sel:WORD_1
	v_fma_f16 v122, v36, v32, -v122
	v_mul_f16_sdwa v36, v36, v32 dst_sel:DWORD dst_unused:UNUSED_PAD src0_sel:DWORD src1_sel:WORD_1
	v_fma_f16 v107, v107, v32, v36
	v_mul_f16_sdwa v36, v108, v33 dst_sel:DWORD dst_unused:UNUSED_PAD src0_sel:DWORD src1_sel:WORD_1
	v_fma_f16 v123, v37, v33, -v36
	v_mul_f16_sdwa v36, v37, v33 dst_sel:DWORD dst_unused:UNUSED_PAD src0_sel:DWORD src1_sel:WORD_1
	v_fma_f16 v108, v108, v33, v36
	;; [unrolled: 4-line block ×4, first 2 shown]
	global_load_dwordx3 v[36:38], v[99:100], off offset:468
	v_sub_f16_e32 v53, v102, v53
	v_fma_f16 v102, v102, 2.0, -v53
	v_sub_f16_e32 v108, v57, v108
	v_sub_f16_e32 v107, v45, v107
	;; [unrolled: 1-line block ×3, first 2 shown]
	v_fma_f16 v57, v57, 2.0, -v108
	v_fma_f16 v45, v45, 2.0, -v107
	;; [unrolled: 1-line block ×3, first 2 shown]
	v_sub_f16_e32 v102, v42, v102
	v_fma_f16 v42, v42, 2.0, -v102
	s_waitcnt vmcnt(0)
	v_mul_f16_sdwa v100, v112, v37 dst_sel:DWORD dst_unused:UNUSED_PAD src0_sel:DWORD src1_sel:WORD_1
	v_mul_f16_sdwa v99, v111, v36 dst_sel:DWORD dst_unused:UNUSED_PAD src0_sel:DWORD src1_sel:WORD_1
	v_fma_f16 v100, v55, v37, -v100
	v_mul_f16_sdwa v55, v55, v37 dst_sel:DWORD dst_unused:UNUSED_PAD src0_sel:DWORD src1_sel:WORD_1
	v_mul_f16_sdwa v110, v113, v38 dst_sel:DWORD dst_unused:UNUSED_PAD src0_sel:DWORD src1_sel:WORD_1
	v_fma_f16 v99, v54, v36, -v99
	v_mul_f16_sdwa v54, v54, v36 dst_sel:DWORD dst_unused:UNUSED_PAD src0_sel:DWORD src1_sel:WORD_1
	v_fma_f16 v55, v112, v37, v55
	v_fma_f16 v110, v56, v38, -v110
	v_mul_f16_sdwa v56, v56, v38 dst_sel:DWORD dst_unused:UNUSED_PAD src0_sel:DWORD src1_sel:WORD_1
	v_sub_f16_e32 v112, v117, v125
	v_fma_f16 v54, v111, v36, v54
	v_fma_f16 v56, v113, v38, v56
	v_sub_f16_e32 v111, v44, v121
	v_fma_f16 v113, v117, 2.0, -v112
	v_sub_f16_e32 v117, v115, v123
	v_sub_f16_e32 v55, v104, v55
	;; [unrolled: 1-line block ×3, first 2 shown]
	v_fma_f16 v104, v104, 2.0, -v55
	v_sub_f16_e32 v54, v103, v54
	v_sub_f16_e32 v56, v105, v56
	v_sub_f16_e32 v53, v111, v53
	v_sub_f16_e32 v55, v117, v55
	v_fma_f16 v44, v44, 2.0, -v111
	v_fma_f16 v115, v115, 2.0, -v117
	;; [unrolled: 1-line block ×3, first 2 shown]
	v_sub_f16_e32 v121, v114, v122
	v_fma_f16 v103, v103, 2.0, -v54
	v_sub_f16_e32 v122, v116, v124
	v_fma_f16 v105, v105, 2.0, -v56
	v_add_f16_e32 v112, v106, v112
	v_fma_f16 v111, v111, 2.0, -v53
	v_add_f16_e32 v100, v108, v100
	v_fma_f16 v117, v117, 2.0, -v55
	v_sub_f16_e32 v99, v118, v99
	v_sub_f16_e32 v110, v120, v110
	v_fma_f16 v106, v106, 2.0, -v112
	v_sub_f16_e32 v104, v57, v104
	v_fma_f16 v108, v108, 2.0, -v100
	v_sub_f16_e32 v103, v45, v103
	v_sub_f16_e32 v54, v121, v54
	;; [unrolled: 1-line block ×4, first 2 shown]
	v_fma_f16 v123, v117, s4, v111
	v_fma_f16 v114, v114, 2.0, -v121
	v_fma_f16 v118, v118, 2.0, -v99
	;; [unrolled: 1-line block ×6, first 2 shown]
	v_add_f16_e32 v99, v107, v99
	v_fma_f16 v121, v121, 2.0, -v54
	v_fma_f16 v101, v101, 2.0, -v105
	v_add_f16_e32 v110, v109, v110
	v_fma_f16 v122, v122, 2.0, -v56
	v_fma_f16 v124, v108, s4, v106
	v_fma_f16 v108, v108, s4, v123
	;; [unrolled: 1-line block ×3, first 2 shown]
	v_fma_f16 v107, v107, 2.0, -v99
	v_fma_f16 v109, v109, 2.0, -v110
	v_sub_f16_e32 v57, v42, v57
	v_fma_f16 v117, v117, s5, v124
	v_fma_f16 v124, v100, s5, v112
	;; [unrolled: 1-line block ×3, first 2 shown]
	v_sub_f16_e32 v101, v45, v101
	v_fma_f16 v123, v122, s4, v121
	v_sub_f16_e32 v113, v44, v113
	v_sub_f16_e32 v118, v114, v118
	v_fma_f16 v42, v42, 2.0, -v57
	v_fma_f16 v55, v55, s5, v124
	v_fma_f16 v45, v45, 2.0, -v101
	v_fma_f16 v124, v109, s4, v107
	v_fma_f16 v109, v109, s4, v123
	v_sub_f16_e32 v119, v115, v119
	v_sub_f16_e32 v120, v116, v120
	v_fma_f16 v111, v111, 2.0, -v108
	v_sub_f16_e32 v104, v113, v104
	v_fma_f16 v122, v122, s5, v124
	v_fma_f16 v121, v121, 2.0, -v109
	v_sub_f16_e32 v105, v118, v105
	v_fma_f16 v123, v56, s5, v54
	v_sub_f16_e32 v45, v42, v45
	v_fma_f16 v44, v44, 2.0, -v113
	v_fma_f16 v115, v115, 2.0, -v119
	;; [unrolled: 1-line block ×5, first 2 shown]
	v_add_f16_e32 v119, v102, v119
	v_fma_f16 v113, v113, 2.0, -v104
	v_fma_f16 v107, v107, 2.0, -v122
	v_add_f16_e32 v120, v103, v120
	v_fma_f16 v118, v118, 2.0, -v105
	v_fma_f16 v124, v110, s5, v99
	v_fma_f16 v110, v110, s4, v123
	v_fma_f16 v123, v42, 2.0, -v45
	v_fma_f16 v42, v121, s15, v111
	v_fma_f16 v102, v102, 2.0, -v119
	v_fma_f16 v53, v53, 2.0, -v100
	;; [unrolled: 1-line block ×3, first 2 shown]
	v_fma_f16 v56, v56, s5, v124
	v_fma_f16 v54, v54, 2.0, -v110
	v_fma_f16 v124, v107, s15, v106
	v_fma_f16 v107, v107, s16, v42
	v_fma_f16 v42, v118, s4, v113
	v_fma_f16 v99, v99, 2.0, -v56
	v_fma_f16 v121, v121, s17, v124
	v_fma_f16 v124, v103, s4, v102
	;; [unrolled: 1-line block ×4, first 2 shown]
	v_sub_f16_e32 v115, v44, v115
	v_fma_f16 v112, v112, 2.0, -v55
	v_sub_f16_e32 v116, v114, v116
	v_fma_f16 v125, v99, s15, v42
	v_fma_f16 v42, v109, s17, v108
	v_fma_f16 v44, v44, 2.0, -v115
	v_fma_f16 v114, v114, 2.0, -v116
	v_fma_f16 v118, v118, s5, v124
	v_fma_f16 v124, v99, s16, v112
	;; [unrolled: 1-line block ×5, first 2 shown]
	v_sub_f16_e32 v114, v44, v114
	v_fma_f16 v109, v109, s18, v99
	v_fma_f16 v99, v120, s5, v119
	;; [unrolled: 1-line block ×4, first 2 shown]
	v_fma_f16 v44, v44, 2.0, -v114
	v_fma_f16 v111, v111, 2.0, -v107
	v_fma_f16 v106, v106, 2.0, -v121
	v_fma_f16 v54, v54, s18, v124
	v_fma_f16 v42, v56, s16, v42
	v_fma_f16 v113, v113, 2.0, -v103
	v_fma_f16 v102, v102, 2.0, -v118
	;; [unrolled: 1-line block ×4, first 2 shown]
	v_sub_f16_e32 v101, v115, v101
	v_add_f16_e32 v116, v57, v116
	v_fma_f16 v105, v105, s5, v99
	v_fma_f16 v99, v56, s18, v55
	v_fma_f16 v56, v100, 2.0, -v42
	v_pack_b32_f16 v44, v44, v123
	v_pack_b32_f16 v100, v111, v106
	v_fma_f16 v115, v115, 2.0, -v101
	v_fma_f16 v57, v57, 2.0, -v116
	;; [unrolled: 1-line block ×4, first 2 shown]
	v_fma_f16 v99, v110, s17, v99
	ds_write2_b32 v58, v44, v100 offset1:108
	v_pack_b32_f16 v44, v113, v102
	v_pack_b32_f16 v53, v53, v112
	v_fma_f16 v104, v104, 2.0, -v120
	v_fma_f16 v119, v119, 2.0, -v105
	;; [unrolled: 1-line block ×3, first 2 shown]
	ds_write2_b32 v47, v44, v53 offset0:88 offset1:196
	v_pack_b32_f16 v44, v115, v57
	v_pack_b32_f16 v53, v108, v117
	ds_write2_b32 v48, v44, v53 offset0:48 offset1:156
	v_pack_b32_f16 v44, v104, v119
	v_pack_b32_f16 v53, v56, v55
	;; [unrolled: 3-line block ×6, first 2 shown]
	v_lshlrev_b32_e32 v102, 2, v73
	ds_write2_b32 v51, v44, v45 offset0:104 offset1:212
	s_waitcnt lgkmcnt(0)
	s_barrier
	global_load_dword v56, v102, s[12:13]
	global_load_dword v104, v102, s[12:13] offset:2736
	ds_read2_b32 v[53:54], v58 offset1:108
	global_load_dword v46, v46, s[12:13]
	v_add_co_u32_e32 v44, vcc, s12, v102
	v_mov_b32_e32 v45, s13
	s_waitcnt lgkmcnt(0)
	v_lshrrev_b32_e32 v55, 16, v53
	v_addc_co_u32_e32 v45, vcc, 0, v45, vcc
	s_waitcnt vmcnt(2)
	v_mul_f16_sdwa v57, v55, v56 dst_sel:DWORD dst_unused:UNUSED_PAD src0_sel:DWORD src1_sel:WORD_1
	v_fma_f16 v57, v53, v56, -v57
	v_mul_f16_sdwa v53, v53, v56 dst_sel:DWORD dst_unused:UNUSED_PAD src0_sel:DWORD src1_sel:WORD_1
	v_fma_f16 v53, v55, v56, v53
	v_pack_b32_f16 v53, v57, v53
	global_load_dword v57, v102, s[12:13] offset:2304
	ds_write_b32 v58, v53
	ds_read2_b32 v[55:56], v48 offset0:48 offset1:192
	s_waitcnt lgkmcnt(0)
	v_lshrrev_b32_e32 v53, 16, v56
	s_waitcnt vmcnt(0)
	v_mul_f16_sdwa v100, v53, v57 dst_sel:DWORD dst_unused:UNUSED_PAD src0_sel:DWORD src1_sel:WORD_1
	v_fma_f16 v100, v56, v57, -v100
	v_mul_f16_sdwa v56, v56, v57 dst_sel:DWORD dst_unused:UNUSED_PAD src0_sel:DWORD src1_sel:WORD_1
	v_fma_f16 v53, v53, v57, v56
	ds_read2_b32 v[56:57], v50 offset0:128 offset1:236
	v_pack_b32_f16 v100, v100, v53
	s_waitcnt lgkmcnt(0)
	v_lshrrev_b32_e32 v53, 16, v56
	v_mul_f16_sdwa v101, v53, v46 dst_sel:DWORD dst_unused:UNUSED_PAD src0_sel:DWORD src1_sel:WORD_1
	v_fma_f16 v101, v56, v46, -v101
	v_mul_f16_sdwa v56, v56, v46 dst_sel:DWORD dst_unused:UNUSED_PAD src0_sel:DWORD src1_sel:WORD_1
	v_fma_f16 v46, v53, v46, v56
	global_load_dword v53, v102, s[12:13] offset:432
	v_pack_b32_f16 v103, v101, v46
	v_lshrrev_b32_e32 v46, 16, v54
	s_waitcnt vmcnt(0)
	v_mul_f16_sdwa v56, v46, v53 dst_sel:DWORD dst_unused:UNUSED_PAD src0_sel:DWORD src1_sel:WORD_1
	v_fma_f16 v56, v54, v53, -v56
	v_mul_f16_sdwa v54, v54, v53 dst_sel:DWORD dst_unused:UNUSED_PAD src0_sel:DWORD src1_sel:WORD_1
	v_fma_f16 v46, v46, v53, v54
	v_pack_b32_f16 v101, v56, v46
	v_add_u32_e32 v46, 0xa00, v58
	ds_read2_b32 v[53:54], v46 offset0:44 offset1:152
	s_waitcnt lgkmcnt(0)
	v_lshrrev_b32_e32 v56, 16, v53
	v_mul_f16_sdwa v105, v56, v104 dst_sel:DWORD dst_unused:UNUSED_PAD src0_sel:DWORD src1_sel:WORD_1
	v_fma_f16 v105, v53, v104, -v105
	v_mul_f16_sdwa v53, v53, v104 dst_sel:DWORD dst_unused:UNUSED_PAD src0_sel:DWORD src1_sel:WORD_1
	v_fma_f16 v53, v56, v104, v53
	v_pack_b32_f16 v53, v105, v53
	ds_write2_b32 v52, v100, v53 offset0:64 offset1:172
	v_add_co_u32_e32 v52, vcc, s14, v44
	v_addc_co_u32_e32 v53, vcc, 0, v45, vcc
	global_load_dword v100, v[52:53], off offset:944
	global_load_dword v105, v102, s[12:13] offset:864
	v_lshrrev_b32_e32 v56, 16, v57
	s_waitcnt vmcnt(1)
	v_mul_f16_sdwa v104, v56, v100 dst_sel:DWORD dst_unused:UNUSED_PAD src0_sel:DWORD src1_sel:WORD_1
	v_fma_f16 v104, v57, v100, -v104
	v_mul_f16_sdwa v57, v57, v100 dst_sel:DWORD dst_unused:UNUSED_PAD src0_sel:DWORD src1_sel:WORD_1
	v_fma_f16 v56, v56, v100, v57
	v_pack_b32_f16 v104, v104, v56
	ds_read2_b32 v[56:57], v47 offset0:88 offset1:196
	s_waitcnt lgkmcnt(0)
	v_lshrrev_b32_e32 v100, 16, v56
	s_waitcnt vmcnt(0)
	v_mul_f16_sdwa v106, v100, v105 dst_sel:DWORD dst_unused:UNUSED_PAD src0_sel:DWORD src1_sel:WORD_1
	v_fma_f16 v106, v56, v105, -v106
	v_mul_f16_sdwa v56, v56, v105 dst_sel:DWORD dst_unused:UNUSED_PAD src0_sel:DWORD src1_sel:WORD_1
	v_fma_f16 v56, v100, v105, v56
	global_load_dword v100, v102, s[12:13] offset:3168
	global_load_dword v105, v[52:53], off offset:1376
	v_pack_b32_f16 v56, v106, v56
	ds_write2_b32 v58, v101, v56 offset0:108 offset1:216
	v_lshrrev_b32_e32 v56, 16, v54
	s_waitcnt vmcnt(1)
	v_mul_f16_sdwa v101, v56, v100 dst_sel:DWORD dst_unused:UNUSED_PAD src0_sel:DWORD src1_sel:WORD_1
	v_fma_f16 v101, v54, v100, -v101
	v_mul_f16_sdwa v54, v54, v100 dst_sel:DWORD dst_unused:UNUSED_PAD src0_sel:DWORD src1_sel:WORD_1
	v_fma_f16 v54, v56, v100, v54
	v_pack_b32_f16 v54, v101, v54
	ds_read2_b32 v[100:101], v98 offset0:88 offset1:196
	s_waitcnt lgkmcnt(0)
	v_lshrrev_b32_e32 v56, 16, v100
	s_waitcnt vmcnt(0)
	v_mul_f16_sdwa v106, v56, v105 dst_sel:DWORD dst_unused:UNUSED_PAD src0_sel:DWORD src1_sel:WORD_1
	v_fma_f16 v106, v100, v105, -v106
	v_mul_f16_sdwa v100, v100, v105 dst_sel:DWORD dst_unused:UNUSED_PAD src0_sel:DWORD src1_sel:WORD_1
	v_fma_f16 v56, v56, v105, v100
	v_pack_b32_f16 v56, v106, v56
	v_add_u32_e32 v100, 0x1200, v58
	ds_write2_b32 v100, v104, v56 offset0:108 offset1:216
	global_load_dword v100, v102, s[12:13] offset:1296
	global_load_dword v105, v102, s[12:13] offset:3600
	v_lshrrev_b32_e32 v56, 16, v57
	s_waitcnt vmcnt(1)
	v_mul_f16_sdwa v104, v56, v100 dst_sel:DWORD dst_unused:UNUSED_PAD src0_sel:DWORD src1_sel:WORD_1
	v_fma_f16 v104, v57, v100, -v104
	v_mul_f16_sdwa v57, v57, v100 dst_sel:DWORD dst_unused:UNUSED_PAD src0_sel:DWORD src1_sel:WORD_1
	v_fma_f16 v56, v56, v100, v57
	v_pack_b32_f16 v100, v104, v56
	ds_read2_b32 v[56:57], v49 offset0:132 offset1:240
	s_waitcnt lgkmcnt(0)
	v_lshrrev_b32_e32 v104, 16, v56
	s_waitcnt vmcnt(0)
	v_mul_f16_sdwa v106, v104, v105 dst_sel:DWORD dst_unused:UNUSED_PAD src0_sel:DWORD src1_sel:WORD_1
	v_fma_f16 v106, v56, v105, -v106
	v_mul_f16_sdwa v56, v56, v105 dst_sel:DWORD dst_unused:UNUSED_PAD src0_sel:DWORD src1_sel:WORD_1
	v_fma_f16 v56, v104, v105, v56
	v_pack_b32_f16 v56, v106, v56
	ds_write2_b32 v49, v54, v56 offset0:24 offset1:132
	global_load_dword v56, v[52:53], off offset:1808
	v_lshrrev_b32_e32 v54, 16, v101
	global_load_dword v52, v[52:53], off offset:2240
	s_waitcnt vmcnt(1)
	v_mul_f16_sdwa v104, v54, v56 dst_sel:DWORD dst_unused:UNUSED_PAD src0_sel:DWORD src1_sel:WORD_1
	v_fma_f16 v104, v101, v56, -v104
	v_mul_f16_sdwa v101, v101, v56 dst_sel:DWORD dst_unused:UNUSED_PAD src0_sel:DWORD src1_sel:WORD_1
	v_fma_f16 v54, v54, v56, v101
	global_load_dword v101, v102, s[12:13] offset:1728
	v_lshrrev_b32_e32 v56, 16, v55
	v_pack_b32_f16 v54, v104, v54
	s_waitcnt vmcnt(0)
	v_mul_f16_sdwa v104, v56, v101 dst_sel:DWORD dst_unused:UNUSED_PAD src0_sel:DWORD src1_sel:WORD_1
	v_fma_f16 v104, v55, v101, -v104
	v_mul_f16_sdwa v55, v55, v101 dst_sel:DWORD dst_unused:UNUSED_PAD src0_sel:DWORD src1_sel:WORD_1
	v_fma_f16 v55, v56, v101, v55
	v_pack_b32_f16 v55, v104, v55
	v_add_u32_e32 v56, 0x400, v58
	ds_write2_b32 v56, v100, v55 offset0:68 offset1:176
	global_load_dword v56, v102, s[12:13] offset:4032
	v_lshrrev_b32_e32 v55, 16, v57
	s_waitcnt vmcnt(0)
	v_mul_f16_sdwa v100, v55, v56 dst_sel:DWORD dst_unused:UNUSED_PAD src0_sel:DWORD src1_sel:WORD_1
	v_fma_f16 v100, v57, v56, -v100
	v_mul_f16_sdwa v57, v57, v56 dst_sel:DWORD dst_unused:UNUSED_PAD src0_sel:DWORD src1_sel:WORD_1
	v_fma_f16 v55, v55, v56, v57
	v_pack_b32_f16 v55, v100, v55
	v_add_u32_e32 v56, 0xf00, v58
	ds_write2_b32 v56, v55, v103 offset0:48 offset1:192
	ds_read_b32 v55, v58 offset:6336
	s_waitcnt lgkmcnt(0)
	v_lshrrev_b32_e32 v56, 16, v55
	v_mul_f16_sdwa v53, v56, v52 dst_sel:DWORD dst_unused:UNUSED_PAD src0_sel:DWORD src1_sel:WORD_1
	v_fma_f16 v53, v55, v52, -v53
	v_mul_f16_sdwa v55, v55, v52 dst_sel:DWORD dst_unused:UNUSED_PAD src0_sel:DWORD src1_sel:WORD_1
	v_fma_f16 v52, v56, v52, v55
	v_pack_b32_f16 v52, v53, v52
	ds_write2_b32 v51, v54, v52 offset0:68 offset1:176
	s_and_saveexec_b64 s[4:5], s[0:1]
	s_cbranch_execz .LBB0_17
; %bb.16:
	global_load_dword v51, v[44:45], off offset:2160
	v_add_co_u32_e32 v44, vcc, 0x1000, v44
	v_addc_co_u32_e32 v45, vcc, 0, v45, vcc
	global_load_dword v52, v[44:45], off offset:368
	global_load_dword v53, v[44:45], off offset:2672
	v_add_u32_e32 v54, 0x70, v58
	ds_read_b32 v55, v58 offset:6768
	ds_read2st64_b32 v[44:45], v54 offset0:8 offset1:17
	s_waitcnt lgkmcnt(1)
	v_lshrrev_b32_e32 v56, 16, v55
	s_waitcnt lgkmcnt(0)
	v_lshrrev_b32_e32 v57, 16, v44
	v_lshrrev_b32_e32 v100, 16, v45
	s_waitcnt vmcnt(2)
	v_mul_f16_sdwa v101, v57, v51 dst_sel:DWORD dst_unused:UNUSED_PAD src0_sel:DWORD src1_sel:WORD_1
	v_mul_f16_sdwa v102, v44, v51 dst_sel:DWORD dst_unused:UNUSED_PAD src0_sel:DWORD src1_sel:WORD_1
	v_fma_f16 v44, v44, v51, -v101
	v_fma_f16 v51, v57, v51, v102
	v_pack_b32_f16 v44, v44, v51
	s_waitcnt vmcnt(1)
	v_mul_f16_sdwa v51, v100, v52 dst_sel:DWORD dst_unused:UNUSED_PAD src0_sel:DWORD src1_sel:WORD_1
	v_mul_f16_sdwa v57, v45, v52 dst_sel:DWORD dst_unused:UNUSED_PAD src0_sel:DWORD src1_sel:WORD_1
	s_waitcnt vmcnt(0)
	v_mul_f16_sdwa v101, v56, v53 dst_sel:DWORD dst_unused:UNUSED_PAD src0_sel:DWORD src1_sel:WORD_1
	v_mul_f16_sdwa v102, v55, v53 dst_sel:DWORD dst_unused:UNUSED_PAD src0_sel:DWORD src1_sel:WORD_1
	v_fma_f16 v45, v45, v52, -v51
	v_fma_f16 v51, v100, v52, v57
	v_fma_f16 v52, v55, v53, -v101
	v_fma_f16 v53, v56, v53, v102
	v_pack_b32_f16 v45, v45, v51
	v_pack_b32_f16 v51, v52, v53
	ds_write2st64_b32 v54, v44, v45 offset0:8 offset1:17
	ds_write_b32 v58, v51 offset:6768
.LBB0_17:
	s_or_b64 exec, exec, s[4:5]
	s_waitcnt lgkmcnt(0)
	s_barrier
	ds_read2_b32 v[52:53], v58 offset1:108
	ds_read2_b32 v[56:57], v48 offset0:48 offset1:192
	ds_read2_b32 v[54:55], v50 offset0:128 offset1:236
	;; [unrolled: 1-line block ×6, first 2 shown]
	ds_read_b32 v100, v58 offset:6336
	s_and_saveexec_b64 s[4:5], s[0:1]
	s_cbranch_execz .LBB0_19
; %bb.18:
	v_add_u32_e32 v42, 0x70, v58
	ds_read2st64_b32 v[42:43], v42 offset0:8 offset1:17
	ds_read_b32 v95, v58 offset:6768
	s_waitcnt lgkmcnt(1)
	v_lshrrev_b32_e32 v99, 16, v42
	v_lshrrev_b32_e32 v96, 16, v43
	s_waitcnt lgkmcnt(0)
	v_lshrrev_b32_e32 v97, 16, v95
.LBB0_19:
	s_or_b64 exec, exec, s[4:5]
	s_waitcnt lgkmcnt(0)
	v_pk_add_f16 v101, v49, v100
	v_pk_add_f16 v98, v56, v49
	v_pk_fma_f16 v108, v101, 0.5, v56 op_sel_hi:[1,0,1] neg_lo:[1,0,0] neg_hi:[1,0,0]
	v_add_f16_e32 v101, v43, v95
	v_pk_add_f16 v98, v98, v100
	v_pk_add_f16 v49, v49, v100 neg_lo:[0,1] neg_hi:[0,1]
	s_movk_i32 s4, 0x3aee
	v_add_f16_e32 v100, v43, v42
	v_fma_f16 v42, v101, -0.5, v42
	v_sub_f16_e32 v102, v96, v97
	s_mov_b32 s5, 0xbaee
	v_fma_f16 v101, v102, s5, v42
	v_fma_f16 v102, v102, s4, v42
	v_add_f16_e32 v42, v96, v99
	v_add_f16_e32 v103, v97, v42
	;; [unrolled: 1-line block ×3, first 2 shown]
	v_fma_f16 v42, v42, -0.5, v99
	v_sub_f16_e32 v43, v43, v95
	v_add_f16_e32 v100, v95, v100
	v_fma_f16 v96, v43, s4, v42
	v_fma_f16 v95, v43, s5, v42
	v_pk_add_f16 v43, v57, v54
	v_pk_add_f16 v104, v52, v57
	v_pk_fma_f16 v43, v43, 0.5, v52 op_sel_hi:[1,0,1] neg_lo:[1,0,0] neg_hi:[1,0,0]
	v_pk_add_f16 v52, v57, v54 neg_lo:[0,1] neg_hi:[0,1]
	v_pk_mul_f16 v52, v52, s4 op_sel_hi:[1,0]
	v_pk_add_f16 v42, v104, v54
	v_pk_add_f16 v54, v43, v52 op_sel:[0,1] op_sel_hi:[1,0] neg_lo:[0,1] neg_hi:[0,1]
	v_pk_add_f16 v43, v43, v52 op_sel:[0,1] op_sel_hi:[1,0]
	s_mov_b32 s5, 0xffff
	v_bfi_b32 v52, s5, v54, v43
	v_pk_add_f16 v105, v53, v50
	s_barrier
	ds_write2_b32 v76, v42, v52 offset1:1
	v_bfi_b32 v42, s5, v43, v54
	v_pk_add_f16 v43, v50, v55
	v_pk_add_f16 v50, v50, v55 neg_lo:[0,1] neg_hi:[0,1]
	v_pk_fma_f16 v43, v43, 0.5, v53 op_sel_hi:[1,0,1] neg_lo:[1,0,0] neg_hi:[1,0,0]
	v_pk_mul_f16 v50, v50, s4 op_sel_hi:[1,0]
	v_pk_add_f16 v52, v43, v50 op_sel:[0,1] op_sel_hi:[1,0] neg_lo:[0,1] neg_hi:[0,1]
	v_pk_add_f16 v43, v43, v50 op_sel:[0,1] op_sel_hi:[1,0]
	ds_write_b32 v76, v42 offset:8
	v_pk_add_f16 v42, v105, v55
	v_bfi_b32 v50, s5, v52, v43
	ds_write2_b32 v77, v42, v50 offset1:1
	v_bfi_b32 v42, s5, v43, v52
	v_pk_add_f16 v43, v51, v46
	v_pk_add_f16 v106, v44, v51
	v_pk_fma_f16 v43, v43, 0.5, v44 op_sel_hi:[1,0,1] neg_lo:[1,0,0] neg_hi:[1,0,0]
	v_pk_add_f16 v44, v51, v46 neg_lo:[0,1] neg_hi:[0,1]
	v_pk_mul_f16 v44, v44, s4 op_sel_hi:[1,0]
	ds_write_b32 v77, v42 offset:8
	v_pk_add_f16 v42, v106, v46
	v_pk_add_f16 v46, v43, v44 op_sel:[0,1] op_sel_hi:[1,0] neg_lo:[0,1] neg_hi:[0,1]
	v_pk_add_f16 v43, v43, v44 op_sel:[0,1] op_sel_hi:[1,0]
	v_bfi_b32 v44, s5, v46, v43
	ds_write2_b32 v78, v42, v44 offset1:1
	v_bfi_b32 v42, s5, v43, v46
	v_pk_add_f16 v43, v48, v47
	v_pk_add_f16 v44, v48, v47 neg_lo:[0,1] neg_hi:[0,1]
	v_pk_fma_f16 v43, v43, 0.5, v45 op_sel_hi:[1,0,1] neg_lo:[1,0,0] neg_hi:[1,0,0]
	v_pk_mul_f16 v44, v44, s4 op_sel_hi:[1,0]
	v_pk_add_f16 v107, v45, v48
	v_pk_add_f16 v45, v43, v44 op_sel:[0,1] op_sel_hi:[1,0] neg_lo:[0,1] neg_hi:[0,1]
	v_pk_add_f16 v43, v43, v44 op_sel:[0,1] op_sel_hi:[1,0]
	v_pk_mul_f16 v49, v49, s4 op_sel_hi:[1,0]
	ds_write_b32 v78, v42 offset:8
	v_pk_add_f16 v42, v107, v47
	v_bfi_b32 v44, s5, v45, v43
	v_pk_add_f16 v56, v108, v49 op_sel:[0,1] op_sel_hi:[1,0] neg_lo:[0,1] neg_hi:[0,1]
	ds_write2_b32 v79, v42, v44 offset1:1
	v_bfi_b32 v42, s5, v43, v45
	v_pk_add_f16 v54, v108, v49 op_sel:[0,1] op_sel_hi:[1,0]
	ds_write_b32 v79, v42 offset:8
	ds_write_b32 v81, v98
	v_bfi_b32 v42, s5, v54, v56
	v_bfi_b32 v43, s5, v56, v54
	ds_write2_b32 v81, v43, v42 offset0:1 offset1:2
	s_and_saveexec_b64 s[4:5], s[0:1]
	s_cbranch_execz .LBB0_21
; %bb.20:
	s_mov_b32 s12, 0x5040100
	v_lshlrev_b32_e32 v42, 2, v80
	v_perm_b32 v43, v96, v101, s12
	v_perm_b32 v44, v103, v100, s12
	ds_write2_b32 v42, v44, v43 offset1:1
	v_perm_b32 v43, v95, v102, s12
	ds_write_b32 v42, v43 offset:8
.LBB0_21:
	s_or_b64 exec, exec, s[4:5]
	v_add_u32_e32 v44, 0x400, v58
	v_add_u32_e32 v46, 0x800, v58
	;; [unrolled: 1-line block ×5, first 2 shown]
	s_waitcnt lgkmcnt(0)
	s_barrier
	ds_read2_b32 v[42:43], v58 offset1:108
	ds_read2_b32 v[44:45], v44 offset0:32 offset1:140
	ds_read2_b32 v[46:47], v46 offset0:64 offset1:172
	;; [unrolled: 1-line block ×5, first 2 shown]
	v_lshrrev_b32_e32 v55, 16, v56
	v_lshrrev_b32_e32 v57, 16, v54
	s_and_saveexec_b64 s[4:5], s[2:3]
	s_cbranch_execz .LBB0_23
; %bb.22:
	ds_read_b32 v98, v58 offset:864
	ds_read_b32 v56, v58 offset:2016
	;; [unrolled: 1-line block ×6, first 2 shown]
	s_waitcnt lgkmcnt(4)
	v_lshrrev_b32_e32 v57, 16, v56
	s_waitcnt lgkmcnt(3)
	v_lshrrev_b32_e32 v55, 16, v54
	;; [unrolled: 2-line block ×5, first 2 shown]
.LBB0_23:
	s_or_b64 exec, exec, s[4:5]
	s_waitcnt lgkmcnt(4)
	v_lshrrev_b32_e32 v77, 16, v44
	v_mul_f16_sdwa v108, v8, v77 dst_sel:DWORD dst_unused:UNUSED_PAD src0_sel:WORD_1 src1_sel:DWORD
	s_waitcnt lgkmcnt(3)
	v_lshrrev_b32_e32 v78, 16, v46
	v_fma_f16 v108, v8, v44, v108
	v_mul_f16_sdwa v44, v8, v44 dst_sel:DWORD dst_unused:UNUSED_PAD src0_sel:WORD_1 src1_sel:DWORD
	v_fma_f16 v8, v8, v77, -v44
	v_mul_f16_sdwa v44, v9, v78 dst_sel:DWORD dst_unused:UNUSED_PAD src0_sel:WORD_1 src1_sel:DWORD
	s_waitcnt lgkmcnt(2)
	v_lshrrev_b32_e32 v79, 16, v48
	v_fma_f16 v44, v9, v46, v44
	v_mul_f16_sdwa v46, v9, v46 dst_sel:DWORD dst_unused:UNUSED_PAD src0_sel:WORD_1 src1_sel:DWORD
	v_lshrrev_b32_e32 v99, 16, v45
	v_fma_f16 v9, v9, v78, -v46
	v_mul_f16_sdwa v46, v10, v79 dst_sel:DWORD dst_unused:UNUSED_PAD src0_sel:WORD_1 src1_sel:DWORD
	s_waitcnt lgkmcnt(1)
	v_lshrrev_b32_e32 v80, 16, v50
	v_fma_f16 v46, v10, v48, v46
	v_mul_f16_sdwa v48, v10, v48 dst_sel:DWORD dst_unused:UNUSED_PAD src0_sel:WORD_1 src1_sel:DWORD
	v_mul_f16_sdwa v77, v4, v99 dst_sel:DWORD dst_unused:UNUSED_PAD src0_sel:WORD_1 src1_sel:DWORD
	v_mul_f16_sdwa v78, v0, v57 dst_sel:DWORD dst_unused:UNUSED_PAD src0_sel:WORD_1 src1_sel:DWORD
	v_lshrrev_b32_e32 v104, 16, v47
	v_fma_f16 v10, v10, v79, -v48
	v_mul_f16_sdwa v48, v11, v80 dst_sel:DWORD dst_unused:UNUSED_PAD src0_sel:WORD_1 src1_sel:DWORD
	v_fma_f16 v77, v4, v45, v77
	v_mul_f16_sdwa v45, v4, v45 dst_sel:DWORD dst_unused:UNUSED_PAD src0_sel:WORD_1 src1_sel:DWORD
	v_fma_f16 v78, v0, v56, v78
	v_mul_f16_sdwa v56, v0, v56 dst_sel:DWORD dst_unused:UNUSED_PAD src0_sel:WORD_1 src1_sel:DWORD
	s_waitcnt lgkmcnt(0)
	v_lshrrev_b32_e32 v81, 16, v52
	v_fma_f16 v48, v11, v50, v48
	v_mul_f16_sdwa v50, v11, v50 dst_sel:DWORD dst_unused:UNUSED_PAD src0_sel:WORD_1 src1_sel:DWORD
	v_fma_f16 v4, v4, v99, -v45
	v_mul_f16_sdwa v45, v5, v104 dst_sel:DWORD dst_unused:UNUSED_PAD src0_sel:WORD_1 src1_sel:DWORD
	v_fma_f16 v0, v0, v57, -v56
	v_mul_f16_sdwa v56, v1, v55 dst_sel:DWORD dst_unused:UNUSED_PAD src0_sel:WORD_1 src1_sel:DWORD
	v_lshrrev_b32_e32 v105, 16, v49
	v_fma_f16 v11, v11, v80, -v50
	v_mul_f16_sdwa v50, v86, v81 dst_sel:DWORD dst_unused:UNUSED_PAD src0_sel:WORD_1 src1_sel:DWORD
	v_fma_f16 v45, v5, v47, v45
	v_mul_f16_sdwa v47, v5, v47 dst_sel:DWORD dst_unused:UNUSED_PAD src0_sel:WORD_1 src1_sel:DWORD
	v_fma_f16 v56, v1, v54, v56
	;; [unrolled: 2-line block ×3, first 2 shown]
	v_mul_f16_sdwa v52, v86, v52 dst_sel:DWORD dst_unused:UNUSED_PAD src0_sel:WORD_1 src1_sel:DWORD
	v_fma_f16 v5, v5, v104, -v47
	v_mul_f16_sdwa v47, v6, v105 dst_sel:DWORD dst_unused:UNUSED_PAD src0_sel:WORD_1 src1_sel:DWORD
	v_fma_f16 v1, v1, v55, -v54
	v_mul_f16_sdwa v54, v2, v103 dst_sel:DWORD dst_unused:UNUSED_PAD src0_sel:WORD_1 src1_sel:DWORD
	v_mul_f16_sdwa v55, v2, v100 dst_sel:DWORD dst_unused:UNUSED_PAD src0_sel:WORD_1 src1_sel:DWORD
	v_lshrrev_b32_e32 v106, 16, v51
	v_fma_f16 v52, v86, v81, -v52
	v_fma_f16 v47, v6, v49, v47
	v_mul_f16_sdwa v49, v6, v49 dst_sel:DWORD dst_unused:UNUSED_PAD src0_sel:WORD_1 src1_sel:DWORD
	v_fma_f16 v54, v2, v100, v54
	v_fma_f16 v2, v2, v103, -v55
	v_mul_f16_sdwa v55, v3, v96 dst_sel:DWORD dst_unused:UNUSED_PAD src0_sel:WORD_1 src1_sel:DWORD
	v_mul_f16_sdwa v57, v3, v101 dst_sel:DWORD dst_unused:UNUSED_PAD src0_sel:WORD_1 src1_sel:DWORD
	v_add_f16_e32 v81, v44, v48
	v_lshrrev_b32_e32 v76, 16, v42
	v_fma_f16 v6, v6, v105, -v49
	v_mul_f16_sdwa v49, v7, v106 dst_sel:DWORD dst_unused:UNUSED_PAD src0_sel:WORD_1 src1_sel:DWORD
	v_fma_f16 v55, v3, v101, v55
	v_fma_f16 v3, v3, v96, -v57
	v_mul_f16_sdwa v57, v84, v95 dst_sel:DWORD dst_unused:UNUSED_PAD src0_sel:WORD_1 src1_sel:DWORD
	v_mul_f16_sdwa v79, v84, v102 dst_sel:DWORD dst_unused:UNUSED_PAD src0_sel:WORD_1 src1_sel:DWORD
	v_add_f16_e32 v80, v42, v44
	v_fma_f16 v42, v81, -0.5, v42
	v_sub_f16_e32 v81, v9, v11
	s_mov_b32 s4, 0xbaee
	s_movk_i32 s5, 0x3aee
	v_lshrrev_b32_e32 v107, 16, v53
	v_fma_f16 v49, v7, v51, v49
	v_mul_f16_sdwa v51, v7, v51 dst_sel:DWORD dst_unused:UNUSED_PAD src0_sel:WORD_1 src1_sel:DWORD
	v_fma_f16 v57, v84, v102, v57
	v_fma_f16 v79, v84, v95, -v79
	v_fma_f16 v84, v81, s4, v42
	v_fma_f16 v42, v81, s5, v42
	v_add_f16_e32 v81, v76, v9
	v_fma_f16 v7, v7, v106, -v51
	v_mul_f16_sdwa v51, v85, v107 dst_sel:DWORD dst_unused:UNUSED_PAD src0_sel:WORD_1 src1_sel:DWORD
	v_add_f16_e32 v80, v80, v48
	v_add_f16_e32 v81, v81, v11
	;; [unrolled: 1-line block ×3, first 2 shown]
	v_sub_f16_e32 v11, v44, v48
	v_add_f16_e32 v48, v46, v50
	v_fma_f16 v51, v85, v53, v51
	v_mul_f16_sdwa v53, v85, v53 dst_sel:DWORD dst_unused:UNUSED_PAD src0_sel:WORD_1 src1_sel:DWORD
	v_fma_f16 v9, v9, -0.5, v76
	v_fma_f16 v48, v48, -0.5, v108
	v_sub_f16_e32 v76, v10, v52
	v_fma_f16 v53, v85, v107, -v53
	v_fma_f16 v85, v76, s4, v48
	v_fma_f16 v48, v76, s5, v48
	v_add_f16_e32 v76, v8, v10
	v_add_f16_e32 v10, v10, v52
	v_fma_f16 v8, v10, -0.5, v8
	v_sub_f16_e32 v10, v46, v50
	v_fma_f16 v44, v11, s5, v9
	v_fma_f16 v9, v11, s4, v9
	v_add_f16_e32 v11, v108, v46
	v_fma_f16 v46, v10, s5, v8
	v_fma_f16 v8, v10, s4, v8
	v_add_f16_e32 v11, v11, v50
	v_add_f16_e32 v76, v76, v52
	v_mul_f16_e32 v50, 0xbaee, v46
	v_mul_f16_e32 v52, 0xbaee, v8
	v_fma_f16 v50, v85, 0.5, v50
	v_fma_f16 v52, v48, -0.5, v52
	v_mul_f16_e32 v46, 0.5, v46
	v_mul_f16_e32 v8, -0.5, v8
	v_add_f16_e32 v10, v80, v11
	v_add_f16_e32 v86, v84, v50
	;; [unrolled: 1-line block ×3, first 2 shown]
	v_fma_f16 v46, v85, s5, v46
	v_fma_f16 v8, v48, s5, v8
	v_sub_f16_e32 v11, v80, v11
	v_sub_f16_e32 v80, v84, v50
	;; [unrolled: 1-line block ×3, first 2 shown]
	v_add_f16_e32 v42, v45, v49
	v_lshrrev_b32_e32 v97, 16, v43
	v_add_f16_e32 v96, v81, v76
	v_add_f16_e32 v85, v44, v46
	v_add_f16_e32 v99, v9, v8
	v_sub_f16_e32 v76, v81, v76
	v_sub_f16_e32 v81, v44, v46
	;; [unrolled: 1-line block ×3, first 2 shown]
	v_add_f16_e32 v9, v43, v45
	v_fma_f16 v42, v42, -0.5, v43
	v_sub_f16_e32 v43, v5, v7
	v_add_f16_e32 v46, v47, v51
	v_fma_f16 v44, v43, s4, v42
	v_fma_f16 v42, v43, s5, v42
	v_add_f16_e32 v43, v97, v5
	v_fma_f16 v46, v46, -0.5, v77
	v_sub_f16_e32 v48, v6, v53
	v_add_f16_e32 v9, v9, v49
	v_add_f16_e32 v43, v43, v7
	;; [unrolled: 1-line block ×3, first 2 shown]
	v_sub_f16_e32 v7, v45, v49
	v_fma_f16 v49, v48, s4, v46
	v_fma_f16 v46, v48, s5, v46
	v_add_f16_e32 v48, v4, v6
	v_add_f16_e32 v6, v6, v53
	v_fma_f16 v5, v5, -0.5, v97
	v_fma_f16 v4, v6, -0.5, v4
	v_sub_f16_e32 v6, v47, v51
	v_fma_f16 v45, v7, s5, v5
	v_fma_f16 v5, v7, s4, v5
	v_add_f16_e32 v7, v77, v47
	v_fma_f16 v47, v6, s5, v4
	v_fma_f16 v4, v6, s4, v4
	v_add_f16_e32 v7, v7, v51
	v_mul_f16_e32 v51, 0xbaee, v4
	v_fma_f16 v51, v46, -0.5, v51
	v_add_f16_e32 v48, v48, v53
	v_add_f16_e32 v97, v42, v51
	v_sub_f16_e32 v103, v42, v51
	v_add_f16_e32 v42, v55, v56
	v_mul_f16_e32 v50, 0xbaee, v47
	v_add_f16_e32 v100, v43, v48
	v_mul_f16_e32 v47, 0.5, v47
	v_sub_f16_e32 v104, v43, v48
	v_fma_f16 v42, v42, -0.5, v98
	v_sub_f16_e32 v43, v1, v3
	v_fma_f16 v50, v49, 0.5, v50
	v_fma_f16 v47, v49, s5, v47
	v_fma_f16 v48, v43, s4, v42
	v_fma_f16 v49, v43, s5, v42
	v_lshrrev_b32_e32 v42, 16, v98
	v_add_f16_e32 v43, v1, v42
	v_add_f16_e32 v1, v3, v1
	v_fma_f16 v1, v1, -0.5, v42
	v_add_f16_e32 v42, v57, v54
	v_mul_f16_e32 v4, -0.5, v4
	v_add_f16_e32 v51, v3, v43
	v_fma_f16 v42, v42, -0.5, v78
	v_sub_f16_e32 v43, v2, v79
	v_add_f16_e32 v101, v45, v47
	v_fma_f16 v4, v46, s5, v4
	v_sub_f16_e32 v105, v45, v47
	v_fma_f16 v45, v43, s4, v42
	v_fma_f16 v46, v43, s5, v42
	v_add_f16_e32 v42, v2, v0
	v_add_f16_e32 v2, v79, v2
	v_fma_f16 v0, v2, -0.5, v0
	v_sub_f16_e32 v2, v54, v57
	v_add_f16_e32 v6, v9, v7
	v_add_f16_e32 v77, v44, v50
	v_sub_f16_e32 v7, v9, v7
	v_sub_f16_e32 v9, v44, v50
	v_fma_f16 v50, v2, s5, v0
	v_fma_f16 v0, v2, s4, v0
	v_add_f16_e32 v102, v5, v4
	v_sub_f16_e32 v4, v5, v4
	v_add_f16_e32 v5, v56, v98
	v_sub_f16_e32 v3, v56, v55
	v_mul_f16_e32 v2, 0xbaee, v50
	v_mul_f16_e32 v44, 0xbaee, v0
	v_mul_f16_e32 v0, -0.5, v0
	v_add_f16_e32 v5, v55, v5
	v_fma_f16 v53, v3, s5, v1
	v_fma_f16 v1, v3, s4, v1
	v_add_f16_e32 v3, v54, v78
	v_add_f16_e32 v55, v79, v42
	v_fma_f16 v2, v45, 0.5, v2
	v_fma_f16 v54, v46, -0.5, v44
	v_mul_f16_e32 v50, 0.5, v50
	v_fma_f16 v0, v46, s5, v0
	v_add_f16_e32 v43, v48, v2
	v_add_f16_e32 v47, v49, v54
	;; [unrolled: 1-line block ×3, first 2 shown]
	v_fma_f16 v56, v45, s5, v50
	v_add_f16_e32 v52, v1, v0
	v_sub_f16_e32 v50, v48, v2
	v_sub_f16_e32 v48, v49, v54
	;; [unrolled: 1-line block ×4, first 2 shown]
	v_pack_b32_f16 v0, v10, v96
	v_pack_b32_f16 v1, v86, v85
	s_barrier
	ds_write2_b32 v88, v0, v1 offset1:3
	v_pack_b32_f16 v0, v95, v99
	v_pack_b32_f16 v1, v11, v76
	ds_write2_b32 v88, v0, v1 offset0:6 offset1:9
	v_pack_b32_f16 v0, v80, v81
	v_pack_b32_f16 v1, v84, v8
	ds_write2_b32 v88, v0, v1 offset0:12 offset1:15
	v_pack_b32_f16 v0, v6, v100
	v_pack_b32_f16 v1, v77, v101
	v_add_f16_e32 v3, v57, v3
	ds_write2_b32 v89, v0, v1 offset1:3
	v_pack_b32_f16 v0, v97, v102
	v_pack_b32_f16 v1, v7, v104
	v_add_f16_e32 v42, v5, v3
	v_add_f16_e32 v45, v53, v56
	v_sub_f16_e32 v46, v5, v3
	v_sub_f16_e32 v53, v53, v56
	ds_write2_b32 v89, v0, v1 offset0:6 offset1:9
	v_pack_b32_f16 v0, v9, v105
	v_pack_b32_f16 v1, v103, v4
	ds_write2_b32 v89, v0, v1 offset0:12 offset1:15
	s_and_saveexec_b64 s[4:5], s[2:3]
	s_cbranch_execz .LBB0_25
; %bb.24:
	s_mov_b32 s12, 0x5040100
	v_lshlrev_b32_e32 v0, 2, v90
	v_perm_b32 v1, v44, v42, s12
	v_perm_b32 v2, v45, v43, s12
	ds_write2_b32 v0, v1, v2 offset1:3
	v_perm_b32 v1, v52, v47, s12
	v_perm_b32 v2, v49, v46, s12
	ds_write2_b32 v0, v1, v2 offset0:6 offset1:9
	v_perm_b32 v1, v53, v50, s12
	v_perm_b32 v2, v51, v48, s12
	ds_write2_b32 v0, v1, v2 offset0:12 offset1:15
.LBB0_25:
	s_or_b64 exec, exec, s[4:5]
	v_add_u32_e32 v2, 0x400, v58
	v_add_u32_e32 v4, 0x800, v58
	;; [unrolled: 1-line block ×5, first 2 shown]
	s_waitcnt lgkmcnt(0)
	s_barrier
	ds_read2_b32 v[0:1], v58 offset1:108
	ds_read2_b32 v[2:3], v2 offset0:32 offset1:140
	ds_read2_b32 v[4:5], v4 offset0:64 offset1:172
	;; [unrolled: 1-line block ×5, first 2 shown]
	s_and_saveexec_b64 s[4:5], s[2:3]
	s_cbranch_execz .LBB0_27
; %bb.26:
	ds_read_b32 v42, v58 offset:864
	ds_read_b32 v43, v58 offset:2016
	;; [unrolled: 1-line block ×6, first 2 shown]
	s_waitcnt lgkmcnt(5)
	v_lshrrev_b32_e32 v44, 16, v42
	s_waitcnt lgkmcnt(4)
	v_lshrrev_b32_e32 v45, 16, v43
	;; [unrolled: 2-line block ×6, first 2 shown]
.LBB0_27:
	s_or_b64 exec, exec, s[4:5]
	s_waitcnt lgkmcnt(4)
	v_lshrrev_b32_e32 v55, 16, v2
	v_mul_f16_sdwa v86, v20, v55 dst_sel:DWORD dst_unused:UNUSED_PAD src0_sel:WORD_1 src1_sel:DWORD
	s_waitcnt lgkmcnt(3)
	v_lshrrev_b32_e32 v56, 16, v4
	v_fma_f16 v86, v20, v2, v86
	v_mul_f16_sdwa v2, v20, v2 dst_sel:DWORD dst_unused:UNUSED_PAD src0_sel:WORD_1 src1_sel:DWORD
	v_fma_f16 v2, v20, v55, -v2
	v_mul_f16_sdwa v20, v21, v56 dst_sel:DWORD dst_unused:UNUSED_PAD src0_sel:WORD_1 src1_sel:DWORD
	s_waitcnt lgkmcnt(2)
	v_lshrrev_b32_e32 v57, 16, v6
	v_fma_f16 v20, v21, v4, v20
	v_mul_f16_sdwa v4, v21, v4 dst_sel:DWORD dst_unused:UNUSED_PAD src0_sel:WORD_1 src1_sel:DWORD
	v_fma_f16 v4, v21, v56, -v4
	;; [unrolled: 6-line block ×3, first 2 shown]
	v_mul_f16_sdwa v22, v23, v76 dst_sel:DWORD dst_unused:UNUSED_PAD src0_sel:WORD_1 src1_sel:DWORD
	v_fma_f16 v22, v23, v8, v22
	v_mul_f16_sdwa v8, v23, v8 dst_sel:DWORD dst_unused:UNUSED_PAD src0_sel:WORD_1 src1_sel:DWORD
	s_waitcnt lgkmcnt(0)
	v_lshrrev_b32_e32 v77, 16, v10
	v_fma_f16 v8, v23, v76, -v8
	v_add_f16_e32 v57, v20, v22
	v_lshrrev_b32_e32 v54, 16, v0
	v_lshrrev_b32_e32 v79, 16, v3
	v_mul_f16_sdwa v23, v92, v77 dst_sel:DWORD dst_unused:UNUSED_PAD src0_sel:WORD_1 src1_sel:DWORD
	v_add_f16_e32 v56, v0, v20
	v_fma_f16 v0, v57, -0.5, v0
	v_sub_f16_e32 v57, v4, v8
	s_mov_b32 s12, 0xbaee
	s_movk_i32 s13, 0x3aee
	v_fma_f16 v23, v92, v10, v23
	v_mul_f16_sdwa v10, v92, v10 dst_sel:DWORD dst_unused:UNUSED_PAD src0_sel:WORD_1 src1_sel:DWORD
	v_mul_f16_sdwa v55, v16, v79 dst_sel:DWORD dst_unused:UNUSED_PAD src0_sel:WORD_1 src1_sel:DWORD
	v_fma_f16 v76, v57, s12, v0
	v_fma_f16 v0, v57, s13, v0
	v_add_f16_e32 v57, v54, v4
	v_lshrrev_b32_e32 v80, 16, v5
	v_fma_f16 v10, v92, v77, -v10
	v_fma_f16 v55, v16, v3, v55
	v_mul_f16_sdwa v3, v16, v3 dst_sel:DWORD dst_unused:UNUSED_PAD src0_sel:WORD_1 src1_sel:DWORD
	v_add_f16_e32 v56, v56, v22
	v_add_f16_e32 v57, v57, v8
	;; [unrolled: 1-line block ×3, first 2 shown]
	v_sub_f16_e32 v8, v20, v22
	v_add_f16_e32 v22, v21, v23
	v_fma_f16 v3, v16, v79, -v3
	v_mul_f16_sdwa v16, v17, v80 dst_sel:DWORD dst_unused:UNUSED_PAD src0_sel:WORD_1 src1_sel:DWORD
	v_fma_f16 v4, v4, -0.5, v54
	v_fma_f16 v22, v22, -0.5, v86
	v_sub_f16_e32 v54, v6, v10
	v_lshrrev_b32_e32 v81, 16, v7
	v_fma_f16 v16, v17, v5, v16
	v_mul_f16_sdwa v5, v17, v5 dst_sel:DWORD dst_unused:UNUSED_PAD src0_sel:WORD_1 src1_sel:DWORD
	v_fma_f16 v77, v54, s12, v22
	v_fma_f16 v22, v54, s13, v22
	v_add_f16_e32 v54, v2, v6
	v_add_f16_e32 v6, v6, v10
	v_fma_f16 v5, v17, v80, -v5
	v_mul_f16_sdwa v17, v18, v81 dst_sel:DWORD dst_unused:UNUSED_PAD src0_sel:WORD_1 src1_sel:DWORD
	v_fma_f16 v2, v6, -0.5, v2
	v_sub_f16_e32 v6, v21, v23
	v_lshrrev_b32_e32 v84, 16, v9
	v_fma_f16 v17, v18, v7, v17
	v_mul_f16_sdwa v7, v18, v7 dst_sel:DWORD dst_unused:UNUSED_PAD src0_sel:WORD_1 src1_sel:DWORD
	v_add_f16_e32 v54, v54, v10
	v_fma_f16 v10, v6, s13, v2
	v_fma_f16 v7, v18, v81, -v7
	v_mul_f16_sdwa v18, v19, v84 dst_sel:DWORD dst_unused:UNUSED_PAD src0_sel:WORD_1 src1_sel:DWORD
	v_fma_f16 v20, v8, s13, v4
	v_fma_f16 v4, v8, s12, v4
	v_add_f16_e32 v8, v86, v21
	v_fma_f16 v2, v6, s12, v2
	v_mul_f16_e32 v21, 0xbaee, v10
	v_mul_f16_e32 v10, 0.5, v10
	v_fma_f16 v18, v19, v9, v18
	v_mul_f16_sdwa v9, v19, v9 dst_sel:DWORD dst_unused:UNUSED_PAD src0_sel:WORD_1 src1_sel:DWORD
	v_mul_f16_e32 v79, 0xbaee, v2
	v_fma_f16 v10, v77, s13, v10
	v_mul_f16_e32 v2, -0.5, v2
	v_lshrrev_b32_e32 v85, 16, v11
	v_fma_f16 v9, v19, v84, -v9
	v_fma_f16 v21, v77, 0.5, v21
	v_add_f16_e32 v77, v20, v10
	v_fma_f16 v2, v22, s13, v2
	v_sub_f16_e32 v10, v20, v10
	v_add_f16_e32 v20, v16, v18
	v_lshrrev_b32_e32 v78, 16, v1
	v_mul_f16_sdwa v19, v91, v85 dst_sel:DWORD dst_unused:UNUSED_PAD src0_sel:WORD_1 src1_sel:DWORD
	v_add_f16_e32 v8, v8, v23
	v_fma_f16 v79, v22, -0.5, v79
	v_add_f16_e32 v22, v4, v2
	v_sub_f16_e32 v2, v4, v2
	v_add_f16_e32 v4, v1, v16
	v_fma_f16 v1, v20, -0.5, v1
	v_sub_f16_e32 v20, v5, v9
	v_fma_f16 v19, v91, v11, v19
	v_mul_f16_sdwa v11, v91, v11 dst_sel:DWORD dst_unused:UNUSED_PAD src0_sel:WORD_1 src1_sel:DWORD
	v_add_f16_e32 v6, v56, v8
	v_sub_f16_e32 v8, v56, v8
	v_fma_f16 v56, v20, s12, v1
	v_fma_f16 v1, v20, s13, v1
	v_add_f16_e32 v20, v78, v5
	v_add_f16_e32 v5, v5, v9
	v_fma_f16 v11, v91, v85, -v11
	v_add_f16_e32 v4, v4, v18
	v_add_f16_e32 v20, v20, v9
	v_fma_f16 v5, v5, -0.5, v78
	v_sub_f16_e32 v9, v16, v18
	v_add_f16_e32 v18, v17, v19
	v_fma_f16 v16, v9, s13, v5
	v_fma_f16 v5, v9, s12, v5
	v_add_f16_e32 v9, v55, v17
	v_fma_f16 v18, v18, -0.5, v55
	v_sub_f16_e32 v55, v7, v11
	v_add_f16_e32 v81, v57, v54
	v_sub_f16_e32 v54, v57, v54
	v_fma_f16 v57, v55, s12, v18
	v_fma_f16 v18, v55, s13, v18
	v_add_f16_e32 v55, v3, v7
	v_add_f16_e32 v7, v7, v11
	v_fma_f16 v3, v7, -0.5, v3
	v_sub_f16_e32 v7, v17, v19
	v_add_f16_e32 v55, v55, v11
	v_fma_f16 v11, v7, s13, v3
	v_fma_f16 v3, v7, s12, v3
	v_add_f16_e32 v23, v76, v21
	v_sub_f16_e32 v21, v76, v21
	v_mul_f16_e32 v76, 0xbaee, v3
	v_mul_f16_e32 v3, -0.5, v3
	v_fma_f16 v3, v18, s13, v3
	v_add_f16_e32 v80, v0, v79
	v_mul_f16_e32 v17, 0xbaee, v11
	v_fma_f16 v76, v18, -0.5, v76
	v_mul_f16_e32 v11, 0.5, v11
	v_add_f16_e32 v18, v5, v3
	v_sub_f16_e32 v3, v5, v3
	v_pack_b32_f16 v5, v6, v81
	v_pack_b32_f16 v6, v23, v77
	v_sub_f16_e32 v0, v0, v79
	v_add_f16_e32 v9, v9, v19
	v_fma_f16 v17, v57, 0.5, v17
	v_fma_f16 v11, v57, s13, v11
	s_barrier
	ds_write2_b32 v93, v5, v6 offset1:18
	v_pack_b32_f16 v5, v80, v22
	v_pack_b32_f16 v6, v8, v54
	v_add_f16_e32 v7, v4, v9
	v_add_f16_e32 v19, v56, v17
	;; [unrolled: 1-line block ×4, first 2 shown]
	ds_write2_b32 v93, v5, v6 offset0:36 offset1:54
	v_pack_b32_f16 v5, v21, v10
	v_pack_b32_f16 v0, v0, v2
	v_add_f16_e32 v78, v1, v76
	v_sub_f16_e32 v4, v4, v9
	v_sub_f16_e32 v9, v56, v17
	;; [unrolled: 1-line block ×3, first 2 shown]
	ds_write2_b32 v93, v5, v0 offset0:72 offset1:90
	v_pack_b32_f16 v0, v7, v79
	v_pack_b32_f16 v2, v19, v57
	v_sub_f16_e32 v1, v1, v76
	v_sub_f16_e32 v11, v16, v11
	ds_write2_b32 v94, v0, v2 offset1:18
	v_pack_b32_f16 v0, v78, v18
	v_pack_b32_f16 v2, v4, v17
	ds_write2_b32 v94, v0, v2 offset0:36 offset1:54
	v_pack_b32_f16 v0, v9, v11
	v_pack_b32_f16 v1, v1, v3
	ds_write2_b32 v94, v0, v1 offset0:72 offset1:90
	s_and_saveexec_b64 s[4:5], s[2:3]
	s_cbranch_execz .LBB0_29
; %bb.28:
	v_mul_f16_sdwa v0, v13, v47 dst_sel:DWORD dst_unused:UNUSED_PAD src0_sel:WORD_1 src1_sel:DWORD
	v_mul_f16_sdwa v3, v13, v52 dst_sel:DWORD dst_unused:UNUSED_PAD src0_sel:WORD_1 src1_sel:DWORD
	v_fma_f16 v0, v13, v52, -v0
	v_mul_f16_sdwa v1, v15, v50 dst_sel:DWORD dst_unused:UNUSED_PAD src0_sel:WORD_1 src1_sel:DWORD
	v_fma_f16 v3, v13, v47, v3
	v_mul_f16_sdwa v8, v14, v49 dst_sel:DWORD dst_unused:UNUSED_PAD src0_sel:WORD_1 src1_sel:DWORD
	v_mul_f16_sdwa v9, v87, v51 dst_sel:DWORD dst_unused:UNUSED_PAD src0_sel:WORD_1 src1_sel:DWORD
	;; [unrolled: 1-line block ×4, first 2 shown]
	v_fma_f16 v1, v15, v53, -v1
	v_mul_f16_sdwa v4, v15, v53 dst_sel:DWORD dst_unused:UNUSED_PAD src0_sel:WORD_1 src1_sel:DWORD
	v_mul_f16_sdwa v7, v12, v45 dst_sel:DWORD dst_unused:UNUSED_PAD src0_sel:WORD_1 src1_sel:DWORD
	v_fma_f16 v8, v14, v46, v8
	v_fma_f16 v9, v87, v48, v9
	v_fma_f16 v11, v14, v49, -v11
	v_fma_f16 v13, v87, v51, -v13
	v_mul_f16_sdwa v16, v12, v43 dst_sel:DWORD dst_unused:UNUSED_PAD src0_sel:WORD_1 src1_sel:DWORD
	v_add_f16_e32 v2, v1, v0
	v_fma_f16 v4, v15, v50, v4
	v_fma_f16 v7, v12, v43, v7
	v_add_f16_e32 v10, v9, v8
	v_fma_f16 v12, v12, v45, -v16
	v_add_f16_e32 v16, v13, v11
	v_fma_f16 v2, v2, -0.5, v44
	v_sub_f16_e32 v5, v3, v4
	v_fma_f16 v10, v10, -0.5, v7
	v_sub_f16_e32 v14, v11, v13
	;; [unrolled: 2-line block ×3, first 2 shown]
	v_add_f16_e32 v11, v11, v12
	v_fma_f16 v6, v5, s12, v2
	v_fma_f16 v15, v14, s13, v10
	v_fma_f16 v2, v5, s13, v2
	v_fma_f16 v5, v14, s12, v10
	v_fma_f16 v10, v17, s13, v16
	v_add_f16_e32 v11, v13, v11
	v_add_f16_e32 v13, v4, v3
	;; [unrolled: 1-line block ×3, first 2 shown]
	v_fma_f16 v18, v17, s12, v16
	v_mul_f16_e32 v14, 0.5, v10
	v_add_f16_e32 v17, v0, v44
	v_fma_f16 v13, v13, -0.5, v42
	v_sub_f16_e32 v0, v0, v1
	v_mul_f16_e32 v10, 0xbaee, v10
	v_add_f16_e32 v3, v4, v3
	v_add_f16_e32 v4, v8, v7
	v_mul_f16_e32 v19, -0.5, v18
	v_fma_f16 v14, v5, s13, v14
	v_add_f16_e32 v17, v1, v17
	v_fma_f16 v1, v0, s13, v13
	v_mul_f16_e32 v18, 0xbaee, v18
	v_fma_f16 v0, v0, s12, v13
	v_fma_f16 v5, v5, 0.5, v10
	v_add_f16_e32 v4, v9, v4
	s_movk_i32 s2, 0x6c
	v_fma_f16 v19, v15, s13, v19
	v_sub_f16_e32 v16, v2, v14
	v_fma_f16 v15, v15, -0.5, v18
	v_sub_f16_e32 v10, v0, v5
	v_sub_f16_e32 v7, v3, v4
	v_add_f16_e32 v2, v2, v14
	v_add_f16_e32 v8, v17, v11
	;; [unrolled: 1-line block ×4, first 2 shown]
	v_mad_legacy_u16 v4, v82, s2, v83
	v_sub_f16_e32 v20, v6, v19
	v_sub_f16_e32 v12, v17, v11
	;; [unrolled: 1-line block ×3, first 2 shown]
	v_add_f16_e32 v6, v6, v19
	v_add_f16_e32 v1, v1, v15
	v_lshlrev_b32_e32 v4, 2, v4
	v_pack_b32_f16 v3, v3, v8
	v_pack_b32_f16 v0, v0, v2
	ds_write2_b32 v4, v3, v0 offset1:18
	v_pack_b32_f16 v0, v1, v6
	v_pack_b32_f16 v1, v7, v12
	ds_write2_b32 v4, v0, v1 offset0:36 offset1:54
	v_pack_b32_f16 v0, v10, v16
	v_pack_b32_f16 v1, v18, v20
	ds_write2_b32 v4, v0, v1 offset0:72 offset1:90
.LBB0_29:
	s_or_b64 exec, exec, s[4:5]
	s_waitcnt lgkmcnt(0)
	s_barrier
	ds_read2_b32 v[0:1], v58 offset1:108
	v_add_u32_e32 v5, 0x200, v58
	ds_read2_b32 v[7:8], v5 offset0:88 offset1:196
	v_add_u32_e32 v42, 0x600, v58
	v_add_u32_e32 v43, 0x800, v58
	s_waitcnt lgkmcnt(1)
	v_lshrrev_b32_e32 v21, 16, v1
	ds_read2_b32 v[9:10], v42 offset0:48 offset1:156
	ds_read2_b32 v[11:12], v43 offset0:136 offset1:244
	v_mul_f16_sdwa v57, v24, v21 dst_sel:DWORD dst_unused:UNUSED_PAD src0_sel:WORD_1 src1_sel:DWORD
	s_waitcnt lgkmcnt(2)
	v_lshrrev_b32_e32 v22, 16, v7
	v_add_u32_e32 v3, 0xc00, v58
	v_add_u32_e32 v6, 0x1000, v58
	v_fma_f16 v57, v24, v1, v57
	v_mul_f16_sdwa v1, v24, v1 dst_sel:DWORD dst_unused:UNUSED_PAD src0_sel:WORD_1 src1_sel:DWORD
	ds_read2_b32 v[13:14], v3 offset0:96 offset1:204
	ds_read2_b32 v[15:16], v6 offset0:56 offset1:164
	v_fma_f16 v1, v24, v21, -v1
	v_mul_f16_sdwa v21, v25, v22 dst_sel:DWORD dst_unused:UNUSED_PAD src0_sel:WORD_1 src1_sel:DWORD
	v_lshrrev_b32_e32 v23, 16, v8
	v_add_u32_e32 v4, 0x1400, v58
	v_add_u32_e32 v50, 0x1600, v58
	v_fma_f16 v21, v25, v7, v21
	v_mul_f16_sdwa v7, v25, v7 dst_sel:DWORD dst_unused:UNUSED_PAD src0_sel:WORD_1 src1_sel:DWORD
	ds_read2_b32 v[17:18], v4 offset0:16 offset1:124
	ds_read2_b32 v[19:20], v50 offset0:104 offset1:212
	v_fma_f16 v7, v25, v22, -v7
	v_mul_f16_sdwa v22, v26, v23 dst_sel:DWORD dst_unused:UNUSED_PAD src0_sel:WORD_1 src1_sel:DWORD
	s_waitcnt lgkmcnt(5)
	v_lshrrev_b32_e32 v44, 16, v9
	s_waitcnt lgkmcnt(4)
	v_lshrrev_b32_e32 v46, 16, v11
	v_fma_f16 v22, v26, v8, v22
	v_mul_f16_sdwa v8, v26, v8 dst_sel:DWORD dst_unused:UNUSED_PAD src0_sel:WORD_1 src1_sel:DWORD
	v_fma_f16 v8, v26, v23, -v8
	v_mul_f16_sdwa v23, v27, v44 dst_sel:DWORD dst_unused:UNUSED_PAD src0_sel:WORD_1 src1_sel:DWORD
	v_mul_f16_sdwa v25, v29, v46 dst_sel:DWORD dst_unused:UNUSED_PAD src0_sel:WORD_1 src1_sel:DWORD
	v_lshrrev_b32_e32 v45, 16, v10
	v_lshrrev_b32_e32 v47, 16, v12
	s_waitcnt lgkmcnt(3)
	v_lshrrev_b32_e32 v48, 16, v13
	s_waitcnt lgkmcnt(2)
	v_lshrrev_b32_e32 v51, 16, v15
	v_fma_f16 v23, v27, v9, v23
	v_mul_f16_sdwa v9, v27, v9 dst_sel:DWORD dst_unused:UNUSED_PAD src0_sel:WORD_1 src1_sel:DWORD
	v_fma_f16 v25, v29, v11, v25
	v_mul_f16_sdwa v11, v29, v11 dst_sel:DWORD dst_unused:UNUSED_PAD src0_sel:WORD_1 src1_sel:DWORD
	v_fma_f16 v9, v27, v44, -v9
	v_mul_f16_sdwa v24, v28, v45 dst_sel:DWORD dst_unused:UNUSED_PAD src0_sel:WORD_1 src1_sel:DWORD
	v_fma_f16 v11, v29, v46, -v11
	v_mul_f16_sdwa v26, v30, v47 dst_sel:DWORD dst_unused:UNUSED_PAD src0_sel:WORD_1 src1_sel:DWORD
	v_mul_f16_sdwa v27, v31, v48 dst_sel:DWORD dst_unused:UNUSED_PAD src0_sel:WORD_1 src1_sel:DWORD
	;; [unrolled: 1-line block ×3, first 2 shown]
	v_lshrrev_b32_e32 v49, 16, v14
	v_lshrrev_b32_e32 v52, 16, v16
	s_waitcnt lgkmcnt(1)
	v_lshrrev_b32_e32 v53, 16, v17
	s_waitcnt lgkmcnt(0)
	v_lshrrev_b32_e32 v55, 16, v19
	v_fma_f16 v24, v28, v10, v24
	v_mul_f16_sdwa v10, v28, v10 dst_sel:DWORD dst_unused:UNUSED_PAD src0_sel:WORD_1 src1_sel:DWORD
	v_fma_f16 v26, v30, v12, v26
	v_mul_f16_sdwa v12, v30, v12 dst_sel:DWORD dst_unused:UNUSED_PAD src0_sel:WORD_1 src1_sel:DWORD
	;; [unrolled: 2-line block ×4, first 2 shown]
	v_fma_f16 v10, v28, v45, -v10
	v_fma_f16 v12, v30, v47, -v12
	;; [unrolled: 1-line block ×3, first 2 shown]
	v_mul_f16_sdwa v28, v32, v49 dst_sel:DWORD dst_unused:UNUSED_PAD src0_sel:WORD_1 src1_sel:DWORD
	v_fma_f16 v15, v33, v51, -v15
	v_mul_f16_sdwa v30, v34, v52 dst_sel:DWORD dst_unused:UNUSED_PAD src0_sel:WORD_1 src1_sel:DWORD
	v_mul_f16_sdwa v31, v35, v53 dst_sel:DWORD dst_unused:UNUSED_PAD src0_sel:WORD_1 src1_sel:DWORD
	;; [unrolled: 1-line block ×3, first 2 shown]
	v_lshrrev_b32_e32 v54, 16, v18
	v_lshrrev_b32_e32 v56, 16, v20
	v_fma_f16 v28, v32, v14, v28
	v_mul_f16_sdwa v14, v32, v14 dst_sel:DWORD dst_unused:UNUSED_PAD src0_sel:WORD_1 src1_sel:DWORD
	v_fma_f16 v30, v34, v16, v30
	v_mul_f16_sdwa v16, v34, v16 dst_sel:DWORD dst_unused:UNUSED_PAD src0_sel:WORD_1 src1_sel:DWORD
	;; [unrolled: 2-line block ×4, first 2 shown]
	v_lshrrev_b32_e32 v2, 16, v0
	v_fma_f16 v14, v32, v49, -v14
	v_fma_f16 v16, v34, v52, -v16
	;; [unrolled: 1-line block ×3, first 2 shown]
	v_mul_f16_sdwa v32, v36, v54 dst_sel:DWORD dst_unused:UNUSED_PAD src0_sel:WORD_1 src1_sel:DWORD
	v_fma_f16 v19, v37, v55, -v19
	v_mul_f16_sdwa v34, v38, v56 dst_sel:DWORD dst_unused:UNUSED_PAD src0_sel:WORD_1 src1_sel:DWORD
	v_fma_f16 v32, v36, v18, v32
	v_mul_f16_sdwa v18, v36, v18 dst_sel:DWORD dst_unused:UNUSED_PAD src0_sel:WORD_1 src1_sel:DWORD
	v_fma_f16 v34, v38, v20, v34
	v_mul_f16_sdwa v20, v38, v20 dst_sel:DWORD dst_unused:UNUSED_PAD src0_sel:WORD_1 src1_sel:DWORD
	v_sub_f16_e32 v27, v0, v27
	v_sub_f16_e32 v13, v2, v13
	;; [unrolled: 1-line block ×8, first 2 shown]
	v_fma_f16 v18, v36, v54, -v18
	v_fma_f16 v20, v38, v56, -v20
	v_fma_f16 v23, v23, 2.0, -v31
	v_fma_f16 v9, v9, 2.0, -v17
	v_fma_f16 v25, v25, 2.0, -v33
	v_fma_f16 v11, v11, 2.0, -v19
	v_add_f16_e32 v17, v27, v17
	v_sub_f16_e32 v31, v13, v31
	v_add_f16_e32 v19, v29, v19
	v_sub_f16_e32 v33, v15, v33
	v_fma_f16 v0, v0, 2.0, -v27
	v_fma_f16 v2, v2, 2.0, -v13
	;; [unrolled: 1-line block ×4, first 2 shown]
	v_sub_f16_e32 v28, v57, v28
	v_sub_f16_e32 v14, v1, v14
	;; [unrolled: 1-line block ×8, first 2 shown]
	v_fma_f16 v27, v27, 2.0, -v17
	v_fma_f16 v13, v13, 2.0, -v31
	;; [unrolled: 1-line block ×4, first 2 shown]
	s_mov_b32 s2, 0xb9a8
	v_fma_f16 v24, v24, 2.0, -v32
	v_fma_f16 v10, v10, 2.0, -v18
	;; [unrolled: 1-line block ×4, first 2 shown]
	v_add_f16_e32 v18, v28, v18
	v_sub_f16_e32 v32, v14, v32
	v_add_f16_e32 v20, v30, v20
	v_sub_f16_e32 v34, v16, v34
	v_fma_f16 v36, v29, s2, v27
	v_fma_f16 v37, v15, s2, v13
	s_movk_i32 s3, 0x39a8
	v_fma_f16 v35, v57, 2.0, -v28
	v_fma_f16 v1, v1, 2.0, -v14
	;; [unrolled: 1-line block ×8, first 2 shown]
	v_fma_f16 v15, v15, s3, v36
	v_fma_f16 v29, v29, s2, v37
	;; [unrolled: 1-line block ×8, first 2 shown]
	v_sub_f16_e32 v23, v0, v23
	v_sub_f16_e32 v9, v2, v9
	;; [unrolled: 1-line block ×8, first 2 shown]
	v_fma_f16 v16, v16, s3, v36
	v_fma_f16 v30, v30, s2, v37
	v_fma_f16 v21, v21, 2.0, -v25
	v_fma_f16 v7, v7, 2.0, -v11
	;; [unrolled: 1-line block ×6, first 2 shown]
	v_add_f16_e32 v11, v23, v11
	v_sub_f16_e32 v25, v9, v25
	v_fma_f16 v28, v28, 2.0, -v16
	v_fma_f16 v14, v14, 2.0, -v30
	v_add_f16_e32 v12, v24, v12
	v_sub_f16_e32 v26, v10, v26
	v_fma_f16 v36, v20, s3, v18
	v_fma_f16 v37, v34, s3, v32
	s_mov_b32 s4, 0xbb64
	v_fma_f16 v0, v0, 2.0, -v23
	v_fma_f16 v2, v2, 2.0, -v9
	;; [unrolled: 1-line block ×8, first 2 shown]
	v_fma_f16 v34, v34, s3, v36
	v_fma_f16 v20, v20, s2, v37
	;; [unrolled: 1-line block ×4, first 2 shown]
	s_movk_i32 s5, 0x361f
	s_mov_b32 s12, 0xb61f
	v_sub_f16_e32 v21, v0, v21
	v_sub_f16_e32 v7, v2, v7
	v_fma_f16 v17, v17, 2.0, -v33
	v_fma_f16 v31, v31, 2.0, -v19
	v_sub_f16_e32 v22, v35, v22
	v_sub_f16_e32 v8, v1, v8
	v_fma_f16 v18, v18, 2.0, -v34
	v_fma_f16 v32, v32, 2.0, -v20
	v_fma_f16 v14, v14, s5, v36
	v_fma_f16 v28, v28, s12, v37
	;; [unrolled: 1-line block ×4, first 2 shown]
	v_fma_f16 v0, v0, 2.0, -v21
	v_fma_f16 v2, v2, 2.0, -v7
	;; [unrolled: 1-line block ×4, first 2 shown]
	v_fma_f16 v10, v10, s3, v36
	v_fma_f16 v24, v24, s2, v37
	;; [unrolled: 1-line block ×4, first 2 shown]
	s_movk_i32 s13, 0x3b64
	v_sub_f16_e32 v35, v0, v35
	v_sub_f16_e32 v1, v2, v1
	v_fma_f16 v32, v32, s13, v36
	v_fma_f16 v18, v18, s4, v37
	;; [unrolled: 1-line block ×4, first 2 shown]
	v_fma_f16 v0, v0, 2.0, -v35
	v_fma_f16 v2, v2, 2.0, -v1
	v_fma_f16 v27, v27, 2.0, -v14
	v_fma_f16 v13, v13, 2.0, -v28
	v_fma_f16 v30, v30, s13, v36
	v_fma_f16 v16, v16, s4, v37
	;; [unrolled: 1-line block ×4, first 2 shown]
	v_fma_f16 v23, v23, 2.0, -v10
	v_fma_f16 v9, v9, 2.0, -v24
	;; [unrolled: 1-line block ×4, first 2 shown]
	v_add_f16_e32 v8, v21, v8
	v_sub_f16_e32 v22, v7, v22
	v_fma_f16 v26, v26, s3, v36
	v_fma_f16 v12, v12, s2, v37
	;; [unrolled: 1-line block ×4, first 2 shown]
	v_pack_b32_f16 v0, v0, v2
	v_pack_b32_f16 v2, v27, v13
	v_fma_f16 v21, v21, 2.0, -v8
	v_fma_f16 v7, v7, 2.0, -v22
	;; [unrolled: 1-line block ×4, first 2 shown]
	v_fma_f16 v20, v20, s5, v36
	v_fma_f16 v34, v34, s12, v37
	ds_write2_b32 v58, v0, v2 offset1:108
	v_pack_b32_f16 v0, v23, v9
	v_pack_b32_f16 v2, v17, v31
	v_fma_f16 v11, v11, 2.0, -v26
	v_fma_f16 v25, v25, 2.0, -v12
	;; [unrolled: 1-line block ×4, first 2 shown]
	ds_write2_b32 v5, v0, v2 offset0:88 offset1:196
	v_pack_b32_f16 v0, v21, v7
	v_pack_b32_f16 v2, v15, v29
	ds_write2_b32 v42, v0, v2 offset0:48 offset1:156
	v_pack_b32_f16 v0, v11, v25
	v_pack_b32_f16 v2, v33, v19
	;; [unrolled: 3-line block ×6, first 2 shown]
	ds_write2_b32 v50, v0, v1 offset0:104 offset1:212
	s_waitcnt lgkmcnt(0)
	s_barrier
	ds_read2_b32 v[7:8], v58 offset1:108
	s_mov_b32 s12, 0xbda12f68
	s_mov_b32 s13, 0x3f42f684
	v_mad_u64_u32 v[9:10], s[2:3], s10, v41, 0
	s_waitcnt lgkmcnt(0)
	v_lshrrev_b32_e32 v12, 16, v7
	v_mul_f16_sdwa v0, v75, v12 dst_sel:DWORD dst_unused:UNUSED_PAD src0_sel:WORD_1 src1_sel:DWORD
	v_fma_f16 v0, v75, v7, v0
	v_cvt_f32_f16_e32 v0, v0
	s_movk_i32 s15, 0x1ff
	v_mov_b32_e32 v2, v10
	v_mad_u64_u32 v[10:11], s[2:3], s11, v41, v[2:3]
	v_cvt_f64_f32_e32 v[0:1], v0
	s_movk_i32 s10, 0xffe
	v_mul_f16_sdwa v7, v75, v7 dst_sel:DWORD dst_unused:UNUSED_PAD src0_sel:WORD_1 src1_sel:DWORD
	v_fma_f16 v7, v75, v12, -v7
	v_mul_f64 v[0:1], v[0:1], s[12:13]
	v_cvt_f32_f16_e32 v7, v7
	s_movk_i32 s11, 0x40f
	s_mov_b32 s14, 0x8000
	v_lshlrev_b64 v[9:10], 2, v[9:10]
	s_movk_i32 s16, 0x1000
	v_and_or_b32 v0, v1, s15, v0
	v_cmp_ne_u32_e32 vcc, 0, v0
	v_cndmask_b32_e64 v0, 0, 1, vcc
	v_lshrrev_b32_e32 v2, 8, v1
	v_bfe_u32 v11, v1, 20, 11
	v_and_or_b32 v0, v2, s10, v0
	v_sub_u32_e32 v13, 0x3f1, v11
	v_or_b32_e32 v2, 0x1000, v0
	v_med3_i32 v13, v13, 0, 13
	v_lshrrev_b32_e32 v14, v13, v2
	v_lshlrev_b32_e32 v13, v13, v14
	v_cmp_ne_u32_e32 vcc, v13, v2
	v_cndmask_b32_e64 v2, 0, 1, vcc
	v_add_u32_e32 v13, 0xfffffc10, v11
	v_or_b32_e32 v2, v14, v2
	v_lshl_or_b32 v11, v13, 12, v0
	v_cmp_gt_i32_e32 vcc, 1, v13
	v_cndmask_b32_e32 v2, v11, v2, vcc
	v_and_b32_e32 v11, 7, v2
	v_cmp_lt_i32_e32 vcc, 5, v11
	v_cmp_eq_u32_e64 s[2:3], 3, v11
	v_cvt_f64_f32_e32 v[11:12], v7
	v_lshrrev_b32_e32 v2, 2, v2
	s_or_b64 vcc, s[2:3], vcc
	v_addc_co_u32_e32 v14, vcc, 0, v2, vcc
	v_mul_f64 v[11:12], v[11:12], s[12:13]
	v_mov_b32_e32 v2, 0x7c00
	v_cmp_gt_i32_e32 vcc, 31, v13
	v_cndmask_b32_e32 v7, v2, v14, vcc
	v_cmp_ne_u32_e32 vcc, 0, v0
	v_cndmask_b32_e64 v0, 0, 1, vcc
	v_lshl_or_b32 v0, v0, 9, v2
	v_cmp_eq_u32_e32 vcc, s11, v13
	v_cndmask_b32_e32 v0, v7, v0, vcc
	v_lshrrev_b32_e32 v1, 16, v1
	v_and_or_b32 v15, v1, s14, v0
	v_and_or_b32 v0, v12, s15, v11
	v_cmp_ne_u32_e32 vcc, 0, v0
	v_cndmask_b32_e64 v0, 0, 1, vcc
	v_lshrrev_b32_e32 v1, 8, v12
	v_bfe_u32 v7, v12, 20, 11
	v_and_or_b32 v0, v1, s10, v0
	v_sub_u32_e32 v11, 0x3f1, v7
	v_or_b32_e32 v1, 0x1000, v0
	v_med3_i32 v11, v11, 0, 13
	v_lshrrev_b32_e32 v13, v11, v1
	v_lshlrev_b32_e32 v11, v11, v13
	v_cmp_ne_u32_e32 vcc, v11, v1
	v_cndmask_b32_e64 v1, 0, 1, vcc
	v_add_u32_e32 v7, 0xfffffc10, v7
	v_or_b32_e32 v1, v13, v1
	v_lshl_or_b32 v11, v7, 12, v0
	v_cmp_gt_i32_e32 vcc, 1, v7
	v_cndmask_b32_e32 v1, v11, v1, vcc
	v_and_b32_e32 v11, 7, v1
	v_cmp_lt_i32_e32 vcc, 5, v11
	v_cmp_eq_u32_e64 s[2:3], 3, v11
	v_lshrrev_b32_e32 v1, 2, v1
	s_or_b64 vcc, s[2:3], vcc
	v_addc_co_u32_e32 v1, vcc, 0, v1, vcc
	v_cmp_gt_i32_e32 vcc, 31, v7
	v_cndmask_b32_e32 v1, v2, v1, vcc
	v_cmp_ne_u32_e32 vcc, 0, v0
	v_cndmask_b32_e64 v0, 0, 1, vcc
	v_lshl_or_b32 v0, v0, 9, v2
	v_cmp_eq_u32_e32 vcc, s11, v7
	v_mad_u64_u32 v[13:14], s[2:3], s8, v73, 0
	v_cndmask_b32_e32 v16, v1, v0, vcc
	ds_read2_b32 v[0:1], v42 offset0:48 offset1:192
	v_mov_b32_e32 v7, v14
	v_lshrrev_b32_e32 v17, 16, v12
	v_mad_u64_u32 v[11:12], s[2:3], s9, v73, v[7:8]
	s_waitcnt lgkmcnt(0)
	v_lshrrev_b32_e32 v7, 16, v1
	v_mul_f16_sdwa v12, v74, v7 dst_sel:DWORD dst_unused:UNUSED_PAD src0_sel:WORD_1 src1_sel:DWORD
	v_fma_f16 v12, v74, v1, v12
	v_cvt_f32_f16_e32 v12, v12
	v_mov_b32_e32 v14, v11
	v_and_or_b32 v16, v17, s14, v16
	v_and_b32_e32 v15, 0xffff, v15
	v_cvt_f64_f32_e32 v[11:12], v12
	v_lshl_or_b32 v15, v16, 16, v15
	v_mov_b32_e32 v16, s7
	v_add_co_u32_e32 v17, vcc, s6, v9
	v_mul_f64 v[11:12], v[11:12], s[12:13]
	v_addc_co_u32_e32 v16, vcc, v16, v10, vcc
	v_lshlrev_b64 v[9:10], 2, v[13:14]
	v_mul_f16_sdwa v1, v74, v1 dst_sel:DWORD dst_unused:UNUSED_PAD src0_sel:WORD_1 src1_sel:DWORD
	v_add_co_u32_e32 v9, vcc, v17, v9
	v_addc_co_u32_e32 v10, vcc, v16, v10, vcc
	v_and_or_b32 v11, v12, s15, v11
	v_cmp_ne_u32_e32 vcc, 0, v11
	v_cndmask_b32_e64 v11, 0, 1, vcc
	v_lshrrev_b32_e32 v13, 8, v12
	v_bfe_u32 v14, v12, 20, 11
	global_store_dword v[9:10], v15, off
	v_and_or_b32 v11, v13, s10, v11
	v_sub_u32_e32 v15, 0x3f1, v14
	v_or_b32_e32 v13, 0x1000, v11
	v_med3_i32 v15, v15, 0, 13
	v_lshrrev_b32_e32 v18, v15, v13
	v_lshlrev_b32_e32 v15, v15, v18
	v_cmp_ne_u32_e32 vcc, v15, v13
	v_fma_f16 v1, v74, v7, -v1
	v_cndmask_b32_e64 v13, 0, 1, vcc
	v_add_u32_e32 v15, 0xfffffc10, v14
	v_cvt_f32_f16_e32 v1, v1
	v_or_b32_e32 v13, v18, v13
	v_lshl_or_b32 v14, v15, 12, v11
	v_cmp_gt_i32_e32 vcc, 1, v15
	v_cndmask_b32_e32 v13, v14, v13, vcc
	v_and_b32_e32 v14, 7, v13
	v_cmp_lt_i32_e32 vcc, 5, v14
	v_cmp_eq_u32_e64 s[2:3], 3, v14
	v_lshrrev_b32_e32 v7, 2, v13
	v_cvt_f64_f32_e32 v[13:14], v1
	s_or_b64 vcc, s[2:3], vcc
	v_addc_co_u32_e32 v1, vcc, 0, v7, vcc
	v_mul_f64 v[13:14], v[13:14], s[12:13]
	v_cmp_gt_i32_e32 vcc, 31, v15
	v_cndmask_b32_e32 v1, v2, v1, vcc
	v_cmp_ne_u32_e32 vcc, 0, v11
	v_cndmask_b32_e64 v7, 0, 1, vcc
	v_lshl_or_b32 v7, v7, 9, v2
	v_cmp_eq_u32_e32 vcc, s11, v15
	v_cndmask_b32_e32 v1, v1, v7, vcc
	v_lshrrev_b32_e32 v7, 16, v12
	v_and_or_b32 v1, v7, s14, v1
	v_and_or_b32 v7, v14, s15, v13
	v_cmp_ne_u32_e32 vcc, 0, v7
	v_cndmask_b32_e64 v7, 0, 1, vcc
	v_lshrrev_b32_e32 v11, 8, v14
	v_bfe_u32 v12, v14, 20, 11
	v_and_or_b32 v7, v11, s10, v7
	v_sub_u32_e32 v13, 0x3f1, v12
	v_or_b32_e32 v11, 0x1000, v7
	v_med3_i32 v13, v13, 0, 13
	v_lshrrev_b32_e32 v15, v13, v11
	v_lshlrev_b32_e32 v13, v13, v15
	v_cmp_ne_u32_e32 vcc, v13, v11
	v_cndmask_b32_e64 v11, 0, 1, vcc
	v_add_u32_e32 v12, 0xfffffc10, v12
	v_or_b32_e32 v11, v15, v11
	v_lshl_or_b32 v13, v12, 12, v7
	v_cmp_gt_i32_e32 vcc, 1, v12
	v_cndmask_b32_e32 v11, v13, v11, vcc
	v_and_b32_e32 v13, 7, v11
	v_cmp_lt_i32_e32 vcc, 5, v13
	v_cmp_eq_u32_e64 s[2:3], 3, v13
	v_lshrrev_b32_e32 v11, 2, v11
	s_or_b64 vcc, s[2:3], vcc
	v_addc_co_u32_e32 v11, vcc, 0, v11, vcc
	v_cmp_gt_i32_e32 vcc, 31, v12
	v_cndmask_b32_e32 v11, v2, v11, vcc
	v_cmp_ne_u32_e32 vcc, 0, v7
	v_cndmask_b32_e64 v7, 0, 1, vcc
	v_lshl_or_b32 v13, v7, 9, v2
	ds_read2_b32 v[6:7], v6 offset0:128 offset1:236
	v_cmp_eq_u32_e32 vcc, s11, v12
	v_cndmask_b32_e32 v11, v11, v13, vcc
	v_lshrrev_b32_e32 v12, 16, v14
	v_and_or_b32 v13, v12, s14, v11
	s_waitcnt lgkmcnt(0)
	v_lshrrev_b32_e32 v14, 16, v6
	v_mul_f16_sdwa v11, v72, v14 dst_sel:DWORD dst_unused:UNUSED_PAD src0_sel:WORD_1 src1_sel:DWORD
	v_fma_f16 v11, v72, v6, v11
	v_cvt_f32_f16_e32 v11, v11
	s_mul_i32 s2, s9, 0x240
	s_mul_hi_u32 s3, s8, 0x240
	s_add_i32 s3, s3, s2
	v_cvt_f64_f32_e32 v[11:12], v11
	s_mul_i32 s2, s8, 0x240
	v_and_b32_e32 v1, 0xffff, v1
	s_lshl_b64 s[6:7], s[2:3], 2
	v_mul_f64 v[11:12], v[11:12], s[12:13]
	v_lshl_or_b32 v13, v13, 16, v1
	v_mov_b32_e32 v1, s7
	v_add_co_u32_e32 v9, vcc, s6, v9
	v_addc_co_u32_e32 v10, vcc, v10, v1, vcc
	global_store_dword v[9:10], v13, off
	v_and_or_b32 v11, v12, s15, v11
	v_cmp_ne_u32_e32 vcc, 0, v11
	v_cndmask_b32_e64 v11, 0, 1, vcc
	v_lshrrev_b32_e32 v13, 8, v12
	v_bfe_u32 v15, v12, 20, 11
	v_and_or_b32 v11, v13, s10, v11
	v_sub_u32_e32 v18, 0x3f1, v15
	v_or_b32_e32 v13, 0x1000, v11
	v_med3_i32 v18, v18, 0, 13
	v_lshrrev_b32_e32 v19, v18, v13
	v_lshlrev_b32_e32 v18, v18, v19
	v_mul_f16_sdwa v6, v72, v6 dst_sel:DWORD dst_unused:UNUSED_PAD src0_sel:WORD_1 src1_sel:DWORD
	v_cmp_ne_u32_e32 vcc, v18, v13
	v_fma_f16 v6, v72, v14, -v6
	v_cndmask_b32_e64 v13, 0, 1, vcc
	v_add_u32_e32 v15, 0xfffffc10, v15
	v_cvt_f32_f16_e32 v6, v6
	v_or_b32_e32 v13, v19, v13
	v_lshl_or_b32 v18, v15, 12, v11
	v_cmp_gt_i32_e32 vcc, 1, v15
	v_cndmask_b32_e32 v13, v18, v13, vcc
	v_and_b32_e32 v18, 7, v13
	v_cmp_lt_i32_e32 vcc, 5, v18
	v_cmp_eq_u32_e64 s[2:3], 3, v18
	v_lshrrev_b32_e32 v18, 2, v13
	v_cvt_f64_f32_e32 v[13:14], v6
	s_or_b64 vcc, s[2:3], vcc
	v_addc_co_u32_e32 v6, vcc, 0, v18, vcc
	v_mul_f64 v[13:14], v[13:14], s[12:13]
	v_cmp_gt_i32_e32 vcc, 31, v15
	v_cndmask_b32_e32 v6, v2, v6, vcc
	v_cmp_ne_u32_e32 vcc, 0, v11
	v_cndmask_b32_e64 v11, 0, 1, vcc
	v_lshl_or_b32 v11, v11, 9, v2
	v_cmp_eq_u32_e32 vcc, s11, v15
	v_cndmask_b32_e32 v6, v6, v11, vcc
	v_lshrrev_b32_e32 v11, 16, v12
	v_and_or_b32 v15, v11, s14, v6
	v_and_or_b32 v6, v14, s15, v13
	v_cmp_ne_u32_e32 vcc, 0, v6
	v_cndmask_b32_e64 v6, 0, 1, vcc
	v_lshrrev_b32_e32 v11, 8, v14
	v_bfe_u32 v12, v14, 20, 11
	v_and_or_b32 v6, v11, s10, v6
	v_sub_u32_e32 v13, 0x3f1, v12
	v_or_b32_e32 v11, 0x1000, v6
	v_med3_i32 v13, v13, 0, 13
	v_lshrrev_b32_e32 v18, v13, v11
	v_lshlrev_b32_e32 v13, v13, v18
	v_cmp_ne_u32_e32 vcc, v13, v11
	v_cndmask_b32_e64 v11, 0, 1, vcc
	v_add_u32_e32 v13, 0xfffffc10, v12
	v_or_b32_e32 v11, v18, v11
	v_lshl_or_b32 v12, v13, 12, v6
	v_cmp_gt_i32_e32 vcc, 1, v13
	v_cndmask_b32_e32 v11, v12, v11, vcc
	v_and_b32_e32 v12, 7, v11
	v_cmp_lt_i32_e32 vcc, 5, v12
	v_cmp_eq_u32_e64 s[2:3], 3, v12
	v_lshrrev_b32_e32 v11, 2, v11
	s_or_b64 vcc, s[2:3], vcc
	v_addc_co_u32_e32 v11, vcc, 0, v11, vcc
	v_cmp_gt_i32_e32 vcc, 31, v13
	v_cndmask_b32_e32 v18, v2, v11, vcc
	v_mad_u64_u32 v[11:12], s[2:3], s8, v70, 0
	v_cmp_ne_u32_e32 vcc, 0, v6
	v_cndmask_b32_e64 v6, 0, 1, vcc
	v_lshl_or_b32 v6, v6, 9, v2
	v_cmp_eq_u32_e32 vcc, s11, v13
	v_lshrrev_b32_e32 v19, 16, v8
	v_cndmask_b32_e32 v18, v18, v6, vcc
	v_mov_b32_e32 v6, v12
	v_mul_f16_sdwa v12, v71, v19 dst_sel:DWORD dst_unused:UNUSED_PAD src0_sel:WORD_1 src1_sel:DWORD
	v_fma_f16 v12, v71, v8, v12
	v_cvt_f32_f16_e32 v20, v12
	v_mad_u64_u32 v[12:13], s[2:3], s9, v70, v[6:7]
	v_lshrrev_b32_e32 v6, 16, v14
	v_cvt_f64_f32_e32 v[13:14], v20
	v_lshlrev_b64 v[11:12], 2, v[11:12]
	v_and_or_b32 v6, v6, s14, v18
	v_and_b32_e32 v15, 0xffff, v15
	v_mul_f64 v[13:14], v[13:14], s[12:13]
	v_add_co_u32_e32 v11, vcc, v17, v11
	v_lshl_or_b32 v6, v6, 16, v15
	v_addc_co_u32_e32 v12, vcc, v16, v12, vcc
	global_store_dword v[11:12], v6, off
	v_mul_f16_sdwa v8, v71, v8 dst_sel:DWORD dst_unused:UNUSED_PAD src0_sel:WORD_1 src1_sel:DWORD
	v_and_or_b32 v6, v14, s15, v13
	v_cmp_ne_u32_e32 vcc, 0, v6
	v_cndmask_b32_e64 v6, 0, 1, vcc
	v_lshrrev_b32_e32 v11, 8, v14
	v_bfe_u32 v12, v14, 20, 11
	v_and_or_b32 v6, v11, s10, v6
	v_sub_u32_e32 v13, 0x3f1, v12
	v_or_b32_e32 v11, 0x1000, v6
	v_med3_i32 v13, v13, 0, 13
	v_lshrrev_b32_e32 v15, v13, v11
	v_lshlrev_b32_e32 v13, v13, v15
	v_cmp_ne_u32_e32 vcc, v13, v11
	v_fma_f16 v8, v71, v19, -v8
	v_cndmask_b32_e64 v11, 0, 1, vcc
	v_add_u32_e32 v13, 0xfffffc10, v12
	v_cvt_f32_f16_e32 v8, v8
	v_or_b32_e32 v11, v15, v11
	v_lshl_or_b32 v12, v13, 12, v6
	v_cmp_gt_i32_e32 vcc, 1, v13
	v_cndmask_b32_e32 v11, v12, v11, vcc
	v_and_b32_e32 v12, 7, v11
	v_cmp_lt_i32_e32 vcc, 5, v12
	v_cmp_eq_u32_e64 s[2:3], 3, v12
	v_lshrrev_b32_e32 v15, 2, v11
	v_cvt_f64_f32_e32 v[11:12], v8
	s_or_b64 vcc, s[2:3], vcc
	v_addc_co_u32_e32 v8, vcc, 0, v15, vcc
	v_mul_f64 v[11:12], v[11:12], s[12:13]
	v_cmp_gt_i32_e32 vcc, 31, v13
	v_cndmask_b32_e32 v8, v2, v8, vcc
	v_cmp_ne_u32_e32 vcc, 0, v6
	v_cndmask_b32_e64 v6, 0, 1, vcc
	v_lshl_or_b32 v6, v6, 9, v2
	v_cmp_eq_u32_e32 vcc, s11, v13
	v_cndmask_b32_e32 v6, v8, v6, vcc
	v_lshrrev_b32_e32 v8, 16, v14
	v_and_or_b32 v6, v8, s14, v6
	v_and_or_b32 v8, v12, s15, v11
	v_cmp_ne_u32_e32 vcc, 0, v8
	v_cndmask_b32_e64 v8, 0, 1, vcc
	v_lshrrev_b32_e32 v11, 8, v12
	v_bfe_u32 v13, v12, 20, 11
	v_and_or_b32 v8, v11, s10, v8
	v_sub_u32_e32 v14, 0x3f1, v13
	v_or_b32_e32 v11, 0x1000, v8
	v_med3_i32 v14, v14, 0, 13
	v_lshrrev_b32_e32 v15, v14, v11
	v_lshlrev_b32_e32 v14, v14, v15
	v_cmp_ne_u32_e32 vcc, v14, v11
	v_cndmask_b32_e64 v11, 0, 1, vcc
	v_or_b32_e32 v11, v15, v11
	v_add_u32_e32 v15, 0xfffffc10, v13
	v_lshl_or_b32 v13, v15, 12, v8
	v_cmp_gt_i32_e32 vcc, 1, v15
	v_cndmask_b32_e32 v11, v13, v11, vcc
	v_and_b32_e32 v13, 7, v11
	v_cmp_lt_i32_e32 vcc, 5, v13
	v_cmp_eq_u32_e64 s[2:3], 3, v13
	v_add_u32_e32 v13, 0xa00, v58
	ds_read2_b32 v[13:14], v13 offset0:44 offset1:152
	v_lshrrev_b32_e32 v11, 2, v11
	s_or_b64 vcc, s[2:3], vcc
	v_addc_co_u32_e32 v11, vcc, 0, v11, vcc
	s_waitcnt lgkmcnt(0)
	v_lshrrev_b32_e32 v16, 16, v13
	v_mul_f16_sdwa v17, v68, v16 dst_sel:DWORD dst_unused:UNUSED_PAD src0_sel:WORD_1 src1_sel:DWORD
	v_fma_f16 v17, v68, v13, v17
	v_cmp_gt_i32_e32 vcc, 31, v15
	v_cvt_f32_f16_e32 v17, v17
	v_cndmask_b32_e32 v11, v2, v11, vcc
	v_cmp_ne_u32_e32 vcc, 0, v8
	v_cndmask_b32_e64 v8, 0, 1, vcc
	v_lshl_or_b32 v8, v8, 9, v2
	v_cmp_eq_u32_e32 vcc, s11, v15
	v_cndmask_b32_e32 v8, v11, v8, vcc
	v_lshrrev_b32_e32 v15, 16, v12
	v_cvt_f64_f32_e32 v[11:12], v17
	v_and_or_b32 v15, v15, s14, v8
	v_mov_b32_e32 v8, 0xfffff8b0
	v_mad_u64_u32 v[8:9], s[2:3], s8, v8, v[9:10]
	v_mul_f64 v[11:12], v[11:12], s[12:13]
	s_mul_i32 s2, s9, 0xfffff8b0
	v_and_b32_e32 v6, 0xffff, v6
	s_sub_i32 s2, s2, s8
	v_lshl_or_b32 v6, v15, 16, v6
	v_add_u32_e32 v9, s2, v9
	global_store_dword v[8:9], v6, off
	v_mul_f16_sdwa v13, v68, v13 dst_sel:DWORD dst_unused:UNUSED_PAD src0_sel:WORD_1 src1_sel:DWORD
	v_and_or_b32 v6, v12, s15, v11
	v_cmp_ne_u32_e32 vcc, 0, v6
	v_cndmask_b32_e64 v6, 0, 1, vcc
	v_lshrrev_b32_e32 v10, 8, v12
	v_bfe_u32 v11, v12, 20, 11
	v_and_or_b32 v6, v10, s10, v6
	v_sub_u32_e32 v15, 0x3f1, v11
	v_or_b32_e32 v10, 0x1000, v6
	v_med3_i32 v15, v15, 0, 13
	v_lshrrev_b32_e32 v17, v15, v10
	v_lshlrev_b32_e32 v15, v15, v17
	v_cmp_ne_u32_e32 vcc, v15, v10
	v_fma_f16 v13, v68, v16, -v13
	v_cndmask_b32_e64 v10, 0, 1, vcc
	v_add_u32_e32 v15, 0xfffffc10, v11
	v_cvt_f32_f16_e32 v13, v13
	v_or_b32_e32 v10, v17, v10
	v_lshl_or_b32 v11, v15, 12, v6
	v_cmp_gt_i32_e32 vcc, 1, v15
	v_cndmask_b32_e32 v10, v11, v10, vcc
	v_and_b32_e32 v11, 7, v10
	v_cmp_lt_i32_e32 vcc, 5, v11
	v_cmp_eq_u32_e64 s[2:3], 3, v11
	v_lshrrev_b32_e32 v16, 2, v10
	v_cvt_f64_f32_e32 v[10:11], v13
	s_or_b64 vcc, s[2:3], vcc
	v_addc_co_u32_e32 v13, vcc, 0, v16, vcc
	v_mul_f64 v[10:11], v[10:11], s[12:13]
	v_cmp_gt_i32_e32 vcc, 31, v15
	v_cndmask_b32_e32 v13, v2, v13, vcc
	v_cmp_ne_u32_e32 vcc, 0, v6
	v_cndmask_b32_e64 v6, 0, 1, vcc
	v_lshl_or_b32 v6, v6, 9, v2
	v_cmp_eq_u32_e32 vcc, s11, v15
	v_cndmask_b32_e32 v6, v13, v6, vcc
	v_and_or_b32 v10, v11, s15, v10
	v_lshrrev_b32_e32 v12, 16, v12
	v_cmp_ne_u32_e32 vcc, 0, v10
	v_and_or_b32 v6, v12, s14, v6
	v_cndmask_b32_e64 v10, 0, 1, vcc
	v_lshrrev_b32_e32 v12, 8, v11
	v_bfe_u32 v13, v11, 20, 11
	v_and_or_b32 v10, v12, s10, v10
	v_sub_u32_e32 v15, 0x3f1, v13
	v_or_b32_e32 v12, 0x1000, v10
	v_med3_i32 v15, v15, 0, 13
	v_lshrrev_b32_e32 v16, v15, v12
	v_lshlrev_b32_e32 v15, v15, v16
	v_cmp_ne_u32_e32 vcc, v15, v12
	v_cndmask_b32_e64 v12, 0, 1, vcc
	v_add_u32_e32 v15, 0xfffffc10, v13
	v_or_b32_e32 v12, v16, v12
	v_lshl_or_b32 v13, v15, 12, v10
	v_cmp_gt_i32_e32 vcc, 1, v15
	v_cndmask_b32_e32 v12, v13, v12, vcc
	v_and_b32_e32 v13, 7, v12
	v_cmp_lt_i32_e32 vcc, 5, v13
	v_cmp_eq_u32_e64 s[2:3], 3, v13
	v_lshrrev_b32_e32 v12, 2, v12
	s_or_b64 vcc, s[2:3], vcc
	v_addc_co_u32_e32 v12, vcc, 0, v12, vcc
	v_cmp_gt_i32_e32 vcc, 31, v15
	v_lshrrev_b32_e32 v17, 16, v7
	v_cndmask_b32_e32 v16, v2, v12, vcc
	v_mul_f16_sdwa v12, v69, v17 dst_sel:DWORD dst_unused:UNUSED_PAD src0_sel:WORD_1 src1_sel:DWORD
	v_fma_f16 v12, v69, v7, v12
	v_cvt_f32_f16_e32 v12, v12
	v_cmp_ne_u32_e32 vcc, 0, v10
	v_cndmask_b32_e64 v10, 0, 1, vcc
	v_lshl_or_b32 v10, v10, 9, v2
	v_cvt_f64_f32_e32 v[12:13], v12
	v_cmp_eq_u32_e32 vcc, s11, v15
	v_cndmask_b32_e32 v10, v16, v10, vcc
	v_lshrrev_b32_e32 v11, 16, v11
	v_and_or_b32 v15, v11, s14, v10
	v_mul_f64 v[10:11], v[12:13], s[12:13]
	v_and_b32_e32 v6, 0xffff, v6
	v_add_co_u32_e32 v8, vcc, s6, v8
	v_lshl_or_b32 v6, v15, 16, v6
	v_addc_co_u32_e32 v9, vcc, v9, v1, vcc
	global_store_dword v[8:9], v6, off
	v_and_or_b32 v6, v11, s15, v10
	v_cmp_ne_u32_e32 vcc, 0, v6
	v_cndmask_b32_e64 v6, 0, 1, vcc
	v_lshrrev_b32_e32 v10, 8, v11
	v_bfe_u32 v12, v11, 20, 11
	v_and_or_b32 v10, v10, s10, v6
	v_sub_u32_e32 v13, 0x3f1, v12
	v_or_b32_e32 v6, 0x1000, v10
	v_med3_i32 v13, v13, 0, 13
	v_lshrrev_b32_e32 v15, v13, v6
	v_lshlrev_b32_e32 v13, v13, v15
	v_mul_f16_sdwa v7, v69, v7 dst_sel:DWORD dst_unused:UNUSED_PAD src0_sel:WORD_1 src1_sel:DWORD
	v_cmp_ne_u32_e32 vcc, v13, v6
	v_fma_f16 v7, v69, v17, -v7
	v_cndmask_b32_e64 v6, 0, 1, vcc
	v_add_u32_e32 v12, 0xfffffc10, v12
	v_cvt_f32_f16_e32 v7, v7
	v_or_b32_e32 v6, v15, v6
	v_lshl_or_b32 v13, v12, 12, v10
	v_cmp_gt_i32_e32 vcc, 1, v12
	v_cndmask_b32_e32 v6, v13, v6, vcc
	v_and_b32_e32 v13, 7, v6
	v_cmp_lt_i32_e32 vcc, 5, v13
	v_cmp_eq_u32_e64 s[2:3], 3, v13
	v_lshrrev_b32_e32 v13, 2, v6
	v_cvt_f64_f32_e32 v[6:7], v7
	s_or_b64 vcc, s[2:3], vcc
	v_addc_co_u32_e32 v13, vcc, 0, v13, vcc
	v_mul_f64 v[6:7], v[6:7], s[12:13]
	v_cmp_gt_i32_e32 vcc, 31, v12
	v_cndmask_b32_e32 v13, v2, v13, vcc
	v_cmp_ne_u32_e32 vcc, 0, v10
	v_cndmask_b32_e64 v10, 0, 1, vcc
	v_lshl_or_b32 v10, v10, 9, v2
	v_cmp_eq_u32_e32 vcc, s11, v12
	v_cndmask_b32_e32 v10, v13, v10, vcc
	v_and_or_b32 v6, v7, s15, v6
	v_lshrrev_b32_e32 v11, 16, v11
	v_cmp_ne_u32_e32 vcc, 0, v6
	v_and_or_b32 v12, v11, s14, v10
	v_cndmask_b32_e64 v6, 0, 1, vcc
	v_lshrrev_b32_e32 v10, 8, v7
	v_bfe_u32 v11, v7, 20, 11
	v_and_or_b32 v10, v10, s10, v6
	v_sub_u32_e32 v13, 0x3f1, v11
	v_or_b32_e32 v6, 0x1000, v10
	v_med3_i32 v13, v13, 0, 13
	v_lshrrev_b32_e32 v15, v13, v6
	v_lshlrev_b32_e32 v13, v13, v15
	v_cmp_ne_u32_e32 vcc, v13, v6
	v_cndmask_b32_e64 v6, 0, 1, vcc
	v_add_u32_e32 v13, 0xfffffc10, v11
	v_or_b32_e32 v6, v15, v6
	v_lshl_or_b32 v11, v13, 12, v10
	v_cmp_gt_i32_e32 vcc, 1, v13
	v_cndmask_b32_e32 v6, v11, v6, vcc
	v_and_b32_e32 v11, 7, v6
	v_cmp_lt_i32_e32 vcc, 5, v11
	v_cmp_eq_u32_e64 s[2:3], 3, v11
	v_lshrrev_b32_e32 v11, 2, v6
	ds_read2_b32 v[5:6], v5 offset0:88 offset1:196
	s_or_b64 vcc, s[2:3], vcc
	v_addc_co_u32_e32 v11, vcc, 0, v11, vcc
	v_cmp_gt_i32_e32 vcc, 31, v13
	s_waitcnt lgkmcnt(0)
	v_lshrrev_b32_e32 v16, 16, v5
	v_cndmask_b32_e32 v15, v2, v11, vcc
	v_mul_f16_sdwa v11, v67, v16 dst_sel:DWORD dst_unused:UNUSED_PAD src0_sel:WORD_1 src1_sel:DWORD
	v_fma_f16 v11, v67, v5, v11
	v_cvt_f32_f16_e32 v11, v11
	v_cmp_ne_u32_e32 vcc, 0, v10
	v_cndmask_b32_e64 v10, 0, 1, vcc
	v_lshl_or_b32 v17, v10, 9, v2
	v_cvt_f64_f32_e32 v[10:11], v11
	v_cmp_eq_u32_e32 vcc, s11, v13
	v_cndmask_b32_e32 v13, v15, v17, vcc
	v_lshrrev_b32_e32 v7, 16, v7
	v_mul_f64 v[10:11], v[10:11], s[12:13]
	v_and_or_b32 v7, v7, s14, v13
	v_and_b32_e32 v12, 0xffff, v12
	v_lshl_or_b32 v12, v7, 16, v12
	v_add_co_u32_e32 v7, vcc, s6, v8
	v_addc_co_u32_e32 v8, vcc, v9, v1, vcc
	v_and_or_b32 v9, v11, s15, v10
	v_cmp_ne_u32_e32 vcc, 0, v9
	v_cndmask_b32_e64 v9, 0, 1, vcc
	v_lshrrev_b32_e32 v10, 8, v11
	global_store_dword v[7:8], v12, off
	v_and_or_b32 v12, v10, s10, v9
	v_bfe_u32 v10, v11, 20, 11
	v_sub_u32_e32 v13, 0x3f1, v10
	v_or_b32_e32 v9, 0x1000, v12
	v_med3_i32 v13, v13, 0, 13
	v_lshrrev_b32_e32 v15, v13, v9
	v_lshlrev_b32_e32 v13, v13, v15
	v_mul_f16_sdwa v5, v67, v5 dst_sel:DWORD dst_unused:UNUSED_PAD src0_sel:WORD_1 src1_sel:DWORD
	v_cmp_ne_u32_e32 vcc, v13, v9
	v_fma_f16 v5, v67, v16, -v5
	v_cndmask_b32_e64 v9, 0, 1, vcc
	v_add_u32_e32 v13, 0xfffffc10, v10
	v_cvt_f32_f16_e32 v5, v5
	v_or_b32_e32 v9, v15, v9
	v_lshl_or_b32 v10, v13, 12, v12
	v_cmp_gt_i32_e32 vcc, 1, v13
	v_cndmask_b32_e32 v9, v10, v9, vcc
	v_and_b32_e32 v10, 7, v9
	v_cmp_lt_i32_e32 vcc, 5, v10
	v_cmp_eq_u32_e64 s[2:3], 3, v10
	v_lshrrev_b32_e32 v15, 2, v9
	v_cvt_f64_f32_e32 v[9:10], v5
	s_or_b64 vcc, s[2:3], vcc
	v_addc_co_u32_e32 v5, vcc, 0, v15, vcc
	v_mul_f64 v[9:10], v[9:10], s[12:13]
	v_cmp_gt_i32_e32 vcc, 31, v13
	v_cndmask_b32_e32 v5, v2, v5, vcc
	v_cmp_ne_u32_e32 vcc, 0, v12
	v_cndmask_b32_e64 v12, 0, 1, vcc
	v_lshl_or_b32 v12, v12, 9, v2
	v_cmp_eq_u32_e32 vcc, s11, v13
	v_cndmask_b32_e32 v5, v5, v12, vcc
	v_and_or_b32 v9, v10, s15, v9
	v_lshrrev_b32_e32 v11, 16, v11
	v_cmp_ne_u32_e32 vcc, 0, v9
	v_and_or_b32 v5, v11, s14, v5
	v_cndmask_b32_e64 v9, 0, 1, vcc
	v_lshrrev_b32_e32 v11, 8, v10
	v_bfe_u32 v12, v10, 20, 11
	v_and_or_b32 v9, v11, s10, v9
	v_sub_u32_e32 v13, 0x3f1, v12
	v_or_b32_e32 v11, 0x1000, v9
	v_med3_i32 v13, v13, 0, 13
	v_lshrrev_b32_e32 v15, v13, v11
	v_lshlrev_b32_e32 v13, v13, v15
	v_cmp_ne_u32_e32 vcc, v13, v11
	v_cndmask_b32_e64 v11, 0, 1, vcc
	v_add_u32_e32 v12, 0xfffffc10, v12
	v_or_b32_e32 v11, v15, v11
	v_lshl_or_b32 v13, v12, 12, v9
	v_cmp_gt_i32_e32 vcc, 1, v12
	v_cndmask_b32_e32 v11, v13, v11, vcc
	v_and_b32_e32 v13, 7, v11
	v_cmp_lt_i32_e32 vcc, 5, v13
	v_cmp_eq_u32_e64 s[2:3], 3, v13
	v_lshrrev_b32_e32 v11, 2, v11
	s_or_b64 vcc, s[2:3], vcc
	v_addc_co_u32_e32 v11, vcc, 0, v11, vcc
	v_cmp_gt_i32_e32 vcc, 31, v12
	v_cndmask_b32_e32 v11, v2, v11, vcc
	v_cmp_ne_u32_e32 vcc, 0, v9
	v_cndmask_b32_e64 v9, 0, 1, vcc
	v_lshl_or_b32 v9, v9, 9, v2
	v_cmp_eq_u32_e32 vcc, s11, v12
	v_cndmask_b32_e32 v9, v11, v9, vcc
	v_lshrrev_b32_e32 v10, 16, v10
	v_lshrrev_b32_e32 v12, 16, v14
	v_and_or_b32 v11, v10, s14, v9
	v_mul_f16_sdwa v9, v66, v12 dst_sel:DWORD dst_unused:UNUSED_PAD src0_sel:WORD_1 src1_sel:DWORD
	v_fma_f16 v9, v66, v14, v9
	v_cvt_f32_f16_e32 v9, v9
	s_mul_hi_u32 s3, s8, 0xfffffbec
	s_mul_i32 s2, s9, 0xfffffbec
	s_sub_i32 s3, s3, s8
	v_cvt_f64_f32_e32 v[9:10], v9
	s_add_i32 s3, s3, s2
	s_mul_i32 s2, s8, 0xfffffbec
	v_and_b32_e32 v5, 0xffff, v5
	v_mul_f64 v[9:10], v[9:10], s[12:13]
	s_lshl_b64 s[4:5], s[2:3], 2
	v_lshl_or_b32 v11, v11, 16, v5
	v_mov_b32_e32 v5, s5
	v_add_co_u32_e32 v7, vcc, s4, v7
	v_addc_co_u32_e32 v8, vcc, v8, v5, vcc
	v_and_or_b32 v9, v10, s15, v9
	v_cmp_ne_u32_e32 vcc, 0, v9
	global_store_dword v[7:8], v11, off
	v_cndmask_b32_e64 v9, 0, 1, vcc
	v_lshrrev_b32_e32 v11, 8, v10
	v_bfe_u32 v13, v10, 20, 11
	v_and_or_b32 v9, v11, s10, v9
	v_sub_u32_e32 v15, 0x3f1, v13
	v_or_b32_e32 v11, 0x1000, v9
	v_med3_i32 v15, v15, 0, 13
	v_lshrrev_b32_e32 v16, v15, v11
	v_mul_f16_sdwa v14, v66, v14 dst_sel:DWORD dst_unused:UNUSED_PAD src0_sel:WORD_1 src1_sel:DWORD
	v_lshlrev_b32_e32 v15, v15, v16
	v_fma_f16 v12, v66, v12, -v14
	v_cmp_ne_u32_e32 vcc, v15, v11
	v_cvt_f32_f16_e32 v12, v12
	v_cndmask_b32_e64 v11, 0, 1, vcc
	v_add_u32_e32 v13, 0xfffffc10, v13
	v_or_b32_e32 v11, v16, v11
	v_lshl_or_b32 v15, v13, 12, v9
	v_cmp_gt_i32_e32 vcc, 1, v13
	v_cndmask_b32_e32 v11, v15, v11, vcc
	v_and_b32_e32 v15, 7, v11
	v_lshrrev_b32_e32 v14, 2, v11
	v_cvt_f64_f32_e32 v[11:12], v12
	v_cmp_lt_i32_e32 vcc, 5, v15
	v_cmp_eq_u32_e64 s[2:3], 3, v15
	s_or_b64 vcc, s[2:3], vcc
	v_mul_f64 v[11:12], v[11:12], s[12:13]
	v_addc_co_u32_e32 v14, vcc, 0, v14, vcc
	v_cmp_gt_i32_e32 vcc, 31, v13
	v_cndmask_b32_e32 v14, v2, v14, vcc
	v_cmp_ne_u32_e32 vcc, 0, v9
	v_cndmask_b32_e64 v9, 0, 1, vcc
	v_lshl_or_b32 v9, v9, 9, v2
	v_cmp_eq_u32_e32 vcc, s11, v13
	v_cndmask_b32_e32 v9, v14, v9, vcc
	v_lshrrev_b32_e32 v10, 16, v10
	v_and_or_b32 v15, v10, s14, v9
	v_and_or_b32 v9, v12, s15, v11
	v_cmp_ne_u32_e32 vcc, 0, v9
	v_cndmask_b32_e64 v9, 0, 1, vcc
	v_lshrrev_b32_e32 v10, 8, v12
	v_and_or_b32 v11, v10, s10, v9
	v_bfe_u32 v10, v12, 20, 11
	v_sub_u32_e32 v13, 0x3f1, v10
	v_or_b32_e32 v9, 0x1000, v11
	v_med3_i32 v13, v13, 0, 13
	v_lshrrev_b32_e32 v14, v13, v9
	v_lshlrev_b32_e32 v13, v13, v14
	v_cmp_ne_u32_e32 vcc, v13, v9
	v_cndmask_b32_e64 v9, 0, 1, vcc
	v_add_u32_e32 v16, 0xfffffc10, v10
	v_or_b32_e32 v9, v14, v9
	v_lshl_or_b32 v10, v16, 12, v11
	v_cmp_gt_i32_e32 vcc, 1, v16
	v_cndmask_b32_e32 v9, v10, v9, vcc
	v_and_b32_e32 v10, 7, v9
	v_cmp_lt_i32_e32 vcc, 5, v10
	v_cmp_eq_u32_e64 s[2:3], 3, v10
	v_lshrrev_b32_e32 v13, 2, v9
	ds_read2_b32 v[9:10], v4 offset0:88 offset1:196
	s_or_b64 vcc, s[2:3], vcc
	v_addc_co_u32_e32 v4, vcc, 0, v13, vcc
	v_cmp_gt_i32_e32 vcc, 31, v16
	s_waitcnt lgkmcnt(0)
	v_lshrrev_b32_e32 v17, 16, v9
	v_mul_f16_sdwa v13, v65, v17 dst_sel:DWORD dst_unused:UNUSED_PAD src0_sel:WORD_1 src1_sel:DWORD
	v_fma_f16 v13, v65, v9, v13
	v_cvt_f32_f16_e32 v13, v13
	v_cndmask_b32_e32 v4, v2, v4, vcc
	v_cmp_ne_u32_e32 vcc, 0, v11
	v_cndmask_b32_e64 v11, 0, 1, vcc
	v_cvt_f64_f32_e32 v[13:14], v13
	v_lshl_or_b32 v11, v11, 9, v2
	v_cmp_eq_u32_e32 vcc, s11, v16
	v_cndmask_b32_e32 v4, v4, v11, vcc
	v_lshrrev_b32_e32 v11, 16, v12
	v_and_or_b32 v4, v11, s14, v4
	v_mul_f64 v[11:12], v[13:14], s[12:13]
	v_and_b32_e32 v13, 0xffff, v15
	v_add_co_u32_e32 v7, vcc, s6, v7
	v_lshl_or_b32 v4, v4, 16, v13
	v_addc_co_u32_e32 v8, vcc, v8, v1, vcc
	global_store_dword v[7:8], v4, off
	v_and_or_b32 v4, v12, s15, v11
	v_cmp_ne_u32_e32 vcc, 0, v4
	v_cndmask_b32_e64 v4, 0, 1, vcc
	v_lshrrev_b32_e32 v11, 8, v12
	v_bfe_u32 v13, v12, 20, 11
	v_and_or_b32 v4, v11, s10, v4
	v_sub_u32_e32 v14, 0x3f1, v13
	v_or_b32_e32 v11, 0x1000, v4
	v_med3_i32 v14, v14, 0, 13
	v_lshrrev_b32_e32 v15, v14, v11
	v_lshlrev_b32_e32 v14, v14, v15
	v_cmp_ne_u32_e32 vcc, v14, v11
	v_mul_f16_sdwa v9, v65, v9 dst_sel:DWORD dst_unused:UNUSED_PAD src0_sel:WORD_1 src1_sel:DWORD
	v_cndmask_b32_e64 v11, 0, 1, vcc
	v_fma_f16 v9, v65, v17, -v9
	v_or_b32_e32 v11, v15, v11
	v_add_u32_e32 v15, 0xfffffc10, v13
	v_cvt_f32_f16_e32 v9, v9
	v_lshl_or_b32 v13, v15, 12, v4
	v_cmp_gt_i32_e32 vcc, 1, v15
	v_cndmask_b32_e32 v11, v13, v11, vcc
	v_and_b32_e32 v13, 7, v11
	v_cmp_lt_i32_e32 vcc, 5, v13
	v_cmp_eq_u32_e64 s[2:3], 3, v13
	v_cvt_f64_f32_e32 v[13:14], v9
	v_lshrrev_b32_e32 v11, 2, v11
	s_or_b64 vcc, s[2:3], vcc
	v_addc_co_u32_e32 v9, vcc, 0, v11, vcc
	v_mul_f64 v[13:14], v[13:14], s[12:13]
	v_cmp_gt_i32_e32 vcc, 31, v15
	v_cndmask_b32_e32 v9, v2, v9, vcc
	v_cmp_ne_u32_e32 vcc, 0, v4
	v_cndmask_b32_e64 v4, 0, 1, vcc
	v_lshl_or_b32 v4, v4, 9, v2
	v_cmp_eq_u32_e32 vcc, s11, v15
	v_cndmask_b32_e32 v4, v9, v4, vcc
	v_lshrrev_b32_e32 v9, 16, v12
	v_and_or_b32 v4, v9, s14, v4
	v_and_or_b32 v9, v14, s15, v13
	v_cmp_ne_u32_e32 vcc, 0, v9
	v_cndmask_b32_e64 v9, 0, 1, vcc
	v_lshrrev_b32_e32 v11, 8, v14
	v_bfe_u32 v12, v14, 20, 11
	v_and_or_b32 v9, v11, s10, v9
	v_sub_u32_e32 v13, 0x3f1, v12
	v_or_b32_e32 v11, 0x1000, v9
	v_med3_i32 v13, v13, 0, 13
	v_lshrrev_b32_e32 v15, v13, v11
	v_lshlrev_b32_e32 v13, v13, v15
	v_cmp_ne_u32_e32 vcc, v13, v11
	v_cndmask_b32_e64 v11, 0, 1, vcc
	v_add_u32_e32 v13, 0xfffffc10, v12
	v_or_b32_e32 v11, v15, v11
	v_lshl_or_b32 v12, v13, 12, v9
	v_cmp_gt_i32_e32 vcc, 1, v13
	v_cndmask_b32_e32 v11, v12, v11, vcc
	v_and_b32_e32 v12, 7, v11
	v_cmp_lt_i32_e32 vcc, 5, v12
	v_cmp_eq_u32_e64 s[2:3], 3, v12
	v_lshrrev_b32_e32 v11, 2, v11
	s_or_b64 vcc, s[2:3], vcc
	v_addc_co_u32_e32 v11, vcc, 0, v11, vcc
	v_cmp_gt_i32_e32 vcc, 31, v13
	v_lshrrev_b32_e32 v16, 16, v6
	v_cndmask_b32_e32 v15, v2, v11, vcc
	v_mul_f16_sdwa v11, v64, v16 dst_sel:DWORD dst_unused:UNUSED_PAD src0_sel:WORD_1 src1_sel:DWORD
	v_fma_f16 v11, v64, v6, v11
	v_cvt_f32_f16_e32 v11, v11
	v_cmp_ne_u32_e32 vcc, 0, v9
	v_cndmask_b32_e64 v9, 0, 1, vcc
	v_lshl_or_b32 v9, v9, 9, v2
	v_cvt_f64_f32_e32 v[11:12], v11
	v_cmp_eq_u32_e32 vcc, s11, v13
	v_cndmask_b32_e32 v9, v15, v9, vcc
	v_lshrrev_b32_e32 v13, 16, v14
	v_mul_f64 v[11:12], v[11:12], s[12:13]
	v_and_or_b32 v9, v13, s14, v9
	v_and_b32_e32 v4, 0xffff, v4
	v_add_co_u32_e32 v7, vcc, s6, v7
	v_lshl_or_b32 v4, v9, 16, v4
	v_addc_co_u32_e32 v8, vcc, v8, v1, vcc
	global_store_dword v[7:8], v4, off
	v_and_or_b32 v4, v12, s15, v11
	v_cmp_ne_u32_e32 vcc, 0, v4
	v_cndmask_b32_e64 v4, 0, 1, vcc
	v_lshrrev_b32_e32 v9, 8, v12
	v_bfe_u32 v11, v12, 20, 11
	v_and_or_b32 v4, v9, s10, v4
	v_sub_u32_e32 v13, 0x3f1, v11
	v_or_b32_e32 v9, 0x1000, v4
	v_med3_i32 v13, v13, 0, 13
	v_lshrrev_b32_e32 v14, v13, v9
	v_lshlrev_b32_e32 v13, v13, v14
	v_mul_f16_sdwa v6, v64, v6 dst_sel:DWORD dst_unused:UNUSED_PAD src0_sel:WORD_1 src1_sel:DWORD
	v_cmp_ne_u32_e32 vcc, v13, v9
	v_fma_f16 v6, v64, v16, -v6
	v_cndmask_b32_e64 v9, 0, 1, vcc
	v_add_u32_e32 v11, 0xfffffc10, v11
	v_cvt_f32_f16_e32 v6, v6
	v_or_b32_e32 v9, v14, v9
	v_lshl_or_b32 v13, v11, 12, v4
	v_cmp_gt_i32_e32 vcc, 1, v11
	v_cndmask_b32_e32 v9, v13, v9, vcc
	v_and_b32_e32 v13, 7, v9
	v_cmp_lt_i32_e32 vcc, 5, v13
	v_cmp_eq_u32_e64 s[2:3], 3, v13
	v_cvt_f64_f32_e32 v[13:14], v6
	v_lshrrev_b32_e32 v9, 2, v9
	s_or_b64 vcc, s[2:3], vcc
	v_addc_co_u32_e32 v6, vcc, 0, v9, vcc
	v_mul_f64 v[13:14], v[13:14], s[12:13]
	v_cmp_gt_i32_e32 vcc, 31, v11
	v_cndmask_b32_e32 v6, v2, v6, vcc
	v_cmp_ne_u32_e32 vcc, 0, v4
	v_cndmask_b32_e64 v4, 0, 1, vcc
	v_lshl_or_b32 v4, v4, 9, v2
	v_cmp_eq_u32_e32 vcc, s11, v11
	v_cndmask_b32_e32 v4, v6, v4, vcc
	v_lshrrev_b32_e32 v6, 16, v12
	v_and_or_b32 v6, v6, s14, v4
	v_and_or_b32 v4, v14, s15, v13
	v_cmp_ne_u32_e32 vcc, 0, v4
	v_cndmask_b32_e64 v4, 0, 1, vcc
	v_lshrrev_b32_e32 v9, 8, v14
	v_bfe_u32 v11, v14, 20, 11
	v_and_or_b32 v9, v9, s10, v4
	v_sub_u32_e32 v12, 0x3f1, v11
	v_or_b32_e32 v4, 0x1000, v9
	v_med3_i32 v12, v12, 0, 13
	v_lshrrev_b32_e32 v13, v12, v4
	v_lshlrev_b32_e32 v12, v12, v13
	v_cmp_ne_u32_e32 vcc, v12, v4
	v_cndmask_b32_e64 v4, 0, 1, vcc
	v_or_b32_e32 v4, v13, v4
	v_add_u32_e32 v13, 0xfffffc10, v11
	v_lshl_or_b32 v11, v13, 12, v9
	v_cmp_gt_i32_e32 vcc, 1, v13
	v_cndmask_b32_e32 v4, v11, v4, vcc
	v_and_b32_e32 v11, 7, v4
	v_cmp_lt_i32_e32 vcc, 5, v11
	v_cmp_eq_u32_e64 s[2:3], 3, v11
	v_lshrrev_b32_e32 v11, 2, v4
	ds_read2_b32 v[3:4], v3 offset0:132 offset1:240
	s_or_b64 vcc, s[2:3], vcc
	v_addc_co_u32_e32 v11, vcc, 0, v11, vcc
	v_cmp_gt_i32_e32 vcc, 31, v13
	s_waitcnt lgkmcnt(0)
	v_lshrrev_b32_e32 v16, 16, v3
	v_cndmask_b32_e32 v15, v2, v11, vcc
	v_mul_f16_sdwa v11, v63, v16 dst_sel:DWORD dst_unused:UNUSED_PAD src0_sel:WORD_1 src1_sel:DWORD
	v_fma_f16 v11, v63, v3, v11
	v_cvt_f32_f16_e32 v11, v11
	v_cmp_ne_u32_e32 vcc, 0, v9
	v_cndmask_b32_e64 v9, 0, 1, vcc
	v_lshl_or_b32 v9, v9, 9, v2
	v_cvt_f64_f32_e32 v[11:12], v11
	v_cmp_eq_u32_e32 vcc, s11, v13
	v_cndmask_b32_e32 v9, v15, v9, vcc
	v_lshrrev_b32_e32 v13, 16, v14
	v_mul_f64 v[11:12], v[11:12], s[12:13]
	v_and_or_b32 v9, v13, s14, v9
	v_and_b32_e32 v6, 0xffff, v6
	v_lshl_or_b32 v9, v9, 16, v6
	v_add_co_u32_e32 v6, vcc, s4, v7
	v_addc_co_u32_e32 v7, vcc, v8, v5, vcc
	v_and_or_b32 v8, v12, s15, v11
	v_cmp_ne_u32_e32 vcc, 0, v8
	global_store_dword v[6:7], v9, off
	v_cndmask_b32_e64 v8, 0, 1, vcc
	v_lshrrev_b32_e32 v9, 8, v12
	v_and_or_b32 v11, v9, s10, v8
	v_bfe_u32 v9, v12, 20, 11
	v_sub_u32_e32 v13, 0x3f1, v9
	v_or_b32_e32 v8, 0x1000, v11
	v_med3_i32 v13, v13, 0, 13
	v_lshrrev_b32_e32 v14, v13, v8
	v_lshlrev_b32_e32 v13, v13, v14
	v_mul_f16_sdwa v3, v63, v3 dst_sel:DWORD dst_unused:UNUSED_PAD src0_sel:WORD_1 src1_sel:DWORD
	v_cmp_ne_u32_e32 vcc, v13, v8
	v_fma_f16 v3, v63, v16, -v3
	v_cndmask_b32_e64 v8, 0, 1, vcc
	v_add_u32_e32 v13, 0xfffffc10, v9
	v_cvt_f32_f16_e32 v3, v3
	v_or_b32_e32 v8, v14, v8
	v_lshl_or_b32 v9, v13, 12, v11
	v_cmp_gt_i32_e32 vcc, 1, v13
	v_cndmask_b32_e32 v8, v9, v8, vcc
	v_and_b32_e32 v9, 7, v8
	v_cmp_lt_i32_e32 vcc, 5, v9
	v_cmp_eq_u32_e64 s[2:3], 3, v9
	v_lshrrev_b32_e32 v14, 2, v8
	v_cvt_f64_f32_e32 v[8:9], v3
	s_or_b64 vcc, s[2:3], vcc
	v_addc_co_u32_e32 v3, vcc, 0, v14, vcc
	v_mul_f64 v[8:9], v[8:9], s[12:13]
	v_cmp_gt_i32_e32 vcc, 31, v13
	v_cndmask_b32_e32 v3, v2, v3, vcc
	v_cmp_ne_u32_e32 vcc, 0, v11
	v_cndmask_b32_e64 v11, 0, 1, vcc
	v_lshl_or_b32 v11, v11, 9, v2
	v_cmp_eq_u32_e32 vcc, s11, v13
	v_cndmask_b32_e32 v3, v3, v11, vcc
	v_and_or_b32 v8, v9, s15, v8
	v_lshrrev_b32_e32 v11, 16, v12
	v_cmp_ne_u32_e32 vcc, 0, v8
	v_and_or_b32 v3, v11, s14, v3
	v_cndmask_b32_e64 v8, 0, 1, vcc
	v_lshrrev_b32_e32 v11, 8, v9
	v_bfe_u32 v12, v9, 20, 11
	v_and_or_b32 v8, v11, s10, v8
	v_sub_u32_e32 v13, 0x3f1, v12
	v_or_b32_e32 v11, 0x1000, v8
	v_med3_i32 v13, v13, 0, 13
	v_lshrrev_b32_e32 v14, v13, v11
	v_lshlrev_b32_e32 v13, v13, v14
	v_cmp_ne_u32_e32 vcc, v13, v11
	v_cndmask_b32_e64 v11, 0, 1, vcc
	v_add_u32_e32 v13, 0xfffffc10, v12
	v_or_b32_e32 v11, v14, v11
	v_lshl_or_b32 v12, v13, 12, v8
	v_cmp_gt_i32_e32 vcc, 1, v13
	v_cndmask_b32_e32 v11, v12, v11, vcc
	v_and_b32_e32 v12, 7, v11
	v_cmp_lt_i32_e32 vcc, 5, v12
	v_cmp_eq_u32_e64 s[2:3], 3, v12
	v_lshrrev_b32_e32 v11, 2, v11
	s_or_b64 vcc, s[2:3], vcc
	v_addc_co_u32_e32 v11, vcc, 0, v11, vcc
	v_cmp_gt_i32_e32 vcc, 31, v13
	v_lshrrev_b32_e32 v15, 16, v10
	v_cndmask_b32_e32 v14, v2, v11, vcc
	v_mul_f16_sdwa v11, v62, v15 dst_sel:DWORD dst_unused:UNUSED_PAD src0_sel:WORD_1 src1_sel:DWORD
	v_fma_f16 v11, v62, v10, v11
	v_cvt_f32_f16_e32 v11, v11
	v_cmp_ne_u32_e32 vcc, 0, v8
	v_cndmask_b32_e64 v8, 0, 1, vcc
	v_lshl_or_b32 v8, v8, 9, v2
	v_cvt_f64_f32_e32 v[11:12], v11
	v_cmp_eq_u32_e32 vcc, s11, v13
	v_cndmask_b32_e32 v8, v14, v8, vcc
	v_lshrrev_b32_e32 v9, 16, v9
	v_and_or_b32 v13, v9, s14, v8
	v_mul_f64 v[8:9], v[11:12], s[12:13]
	v_and_b32_e32 v3, 0xffff, v3
	v_add_co_u32_e32 v6, vcc, s6, v6
	v_lshl_or_b32 v3, v13, 16, v3
	v_addc_co_u32_e32 v7, vcc, v7, v1, vcc
	global_store_dword v[6:7], v3, off
	v_and_or_b32 v3, v9, s15, v8
	v_cmp_ne_u32_e32 vcc, 0, v3
	v_cndmask_b32_e64 v3, 0, 1, vcc
	v_lshrrev_b32_e32 v8, 8, v9
	v_bfe_u32 v11, v9, 20, 11
	v_and_or_b32 v3, v8, s10, v3
	v_sub_u32_e32 v12, 0x3f1, v11
	v_or_b32_e32 v8, 0x1000, v3
	v_med3_i32 v12, v12, 0, 13
	v_lshrrev_b32_e32 v13, v12, v8
	v_lshlrev_b32_e32 v12, v12, v13
	v_mul_f16_sdwa v10, v62, v10 dst_sel:DWORD dst_unused:UNUSED_PAD src0_sel:WORD_1 src1_sel:DWORD
	v_cmp_ne_u32_e32 vcc, v12, v8
	v_fma_f16 v10, v62, v15, -v10
	v_cndmask_b32_e64 v8, 0, 1, vcc
	v_add_u32_e32 v12, 0xfffffc10, v11
	v_cvt_f32_f16_e32 v10, v10
	v_or_b32_e32 v8, v13, v8
	v_lshl_or_b32 v11, v12, 12, v3
	v_cmp_gt_i32_e32 vcc, 1, v12
	v_cndmask_b32_e32 v8, v11, v8, vcc
	v_and_b32_e32 v11, 7, v8
	v_cmp_lt_i32_e32 vcc, 5, v11
	v_cmp_eq_u32_e64 s[2:3], 3, v11
	v_cvt_f64_f32_e32 v[10:11], v10
	v_lshrrev_b32_e32 v8, 2, v8
	s_or_b64 vcc, s[2:3], vcc
	v_addc_co_u32_e32 v8, vcc, 0, v8, vcc
	v_mul_f64 v[10:11], v[10:11], s[12:13]
	v_cmp_gt_i32_e32 vcc, 31, v12
	v_cndmask_b32_e32 v8, v2, v8, vcc
	v_cmp_ne_u32_e32 vcc, 0, v3
	v_cndmask_b32_e64 v3, 0, 1, vcc
	v_lshl_or_b32 v3, v3, 9, v2
	v_cmp_eq_u32_e32 vcc, s11, v12
	v_cndmask_b32_e32 v3, v8, v3, vcc
	v_lshrrev_b32_e32 v8, 16, v9
	v_and_or_b32 v3, v8, s14, v3
	v_and_or_b32 v8, v11, s15, v10
	v_cmp_ne_u32_e32 vcc, 0, v8
	v_cndmask_b32_e64 v8, 0, 1, vcc
	v_lshrrev_b32_e32 v9, 8, v11
	v_bfe_u32 v10, v11, 20, 11
	v_and_or_b32 v8, v9, s10, v8
	v_sub_u32_e32 v12, 0x3f1, v10
	v_or_b32_e32 v9, 0x1000, v8
	v_med3_i32 v12, v12, 0, 13
	v_lshrrev_b32_e32 v13, v12, v9
	v_lshlrev_b32_e32 v12, v12, v13
	v_cmp_ne_u32_e32 vcc, v12, v9
	v_cndmask_b32_e64 v9, 0, 1, vcc
	v_add_u32_e32 v10, 0xfffffc10, v10
	v_or_b32_e32 v9, v13, v9
	v_lshl_or_b32 v12, v10, 12, v8
	v_cmp_gt_i32_e32 vcc, 1, v10
	v_cndmask_b32_e32 v9, v12, v9, vcc
	v_and_b32_e32 v12, 7, v9
	v_cmp_lt_i32_e32 vcc, 5, v12
	v_cmp_eq_u32_e64 s[2:3], 3, v12
	v_lshrrev_b32_e32 v9, 2, v9
	s_or_b64 vcc, s[2:3], vcc
	v_addc_co_u32_e32 v9, vcc, 0, v9, vcc
	v_cmp_gt_i32_e32 vcc, 31, v10
	v_lshrrev_b32_e32 v13, 16, v0
	v_cndmask_b32_e32 v12, v2, v9, vcc
	v_mul_f16_sdwa v9, v61, v13 dst_sel:DWORD dst_unused:UNUSED_PAD src0_sel:WORD_1 src1_sel:DWORD
	v_fma_f16 v9, v61, v0, v9
	v_cvt_f32_f16_e32 v9, v9
	v_cmp_ne_u32_e32 vcc, 0, v8
	v_cndmask_b32_e64 v8, 0, 1, vcc
	v_lshl_or_b32 v14, v8, 9, v2
	v_cvt_f64_f32_e32 v[8:9], v9
	v_cmp_eq_u32_e32 vcc, s11, v10
	v_cndmask_b32_e32 v10, v12, v14, vcc
	v_lshrrev_b32_e32 v11, 16, v11
	v_mul_f64 v[8:9], v[8:9], s[12:13]
	v_and_or_b32 v10, v11, s14, v10
	v_and_b32_e32 v3, 0xffff, v3
	v_add_co_u32_e32 v6, vcc, s6, v6
	v_lshl_or_b32 v3, v10, 16, v3
	v_addc_co_u32_e32 v7, vcc, v7, v1, vcc
	global_store_dword v[6:7], v3, off
	v_and_or_b32 v3, v9, s15, v8
	v_cmp_ne_u32_e32 vcc, 0, v3
	v_cndmask_b32_e64 v3, 0, 1, vcc
	v_lshrrev_b32_e32 v8, 8, v9
	v_bfe_u32 v10, v9, 20, 11
	v_and_or_b32 v3, v8, s10, v3
	v_sub_u32_e32 v11, 0x3f1, v10
	v_or_b32_e32 v8, 0x1000, v3
	v_med3_i32 v11, v11, 0, 13
	v_lshrrev_b32_e32 v12, v11, v8
	v_lshlrev_b32_e32 v11, v11, v12
	v_cmp_ne_u32_e32 vcc, v11, v8
	v_mul_f16_sdwa v0, v61, v0 dst_sel:DWORD dst_unused:UNUSED_PAD src0_sel:WORD_1 src1_sel:DWORD
	v_cndmask_b32_e64 v8, 0, 1, vcc
	v_fma_f16 v0, v61, v13, -v0
	v_or_b32_e32 v8, v12, v8
	v_add_u32_e32 v12, 0xfffffc10, v10
	v_cvt_f32_f16_e32 v0, v0
	v_lshl_or_b32 v10, v12, 12, v3
	v_cmp_gt_i32_e32 vcc, 1, v12
	v_cndmask_b32_e32 v8, v10, v8, vcc
	v_and_b32_e32 v10, 7, v8
	v_cmp_lt_i32_e32 vcc, 5, v10
	v_cmp_eq_u32_e64 s[2:3], 3, v10
	v_cvt_f64_f32_e32 v[10:11], v0
	v_lshrrev_b32_e32 v8, 2, v8
	s_or_b64 vcc, s[2:3], vcc
	v_addc_co_u32_e32 v0, vcc, 0, v8, vcc
	v_mul_f64 v[10:11], v[10:11], s[12:13]
	v_cmp_gt_i32_e32 vcc, 31, v12
	v_cndmask_b32_e32 v0, v2, v0, vcc
	v_cmp_ne_u32_e32 vcc, 0, v3
	v_cndmask_b32_e64 v3, 0, 1, vcc
	v_lshl_or_b32 v3, v3, 9, v2
	v_cmp_eq_u32_e32 vcc, s11, v12
	v_cndmask_b32_e32 v0, v0, v3, vcc
	v_lshrrev_b32_e32 v3, 16, v9
	v_and_or_b32 v0, v3, s14, v0
	v_and_or_b32 v3, v11, s15, v10
	v_cmp_ne_u32_e32 vcc, 0, v3
	v_cndmask_b32_e64 v3, 0, 1, vcc
	v_lshrrev_b32_e32 v8, 8, v11
	v_bfe_u32 v9, v11, 20, 11
	v_and_or_b32 v3, v8, s10, v3
	v_sub_u32_e32 v10, 0x3f1, v9
	v_or_b32_e32 v8, 0x1000, v3
	v_med3_i32 v10, v10, 0, 13
	v_lshrrev_b32_e32 v12, v10, v8
	v_lshlrev_b32_e32 v10, v10, v12
	v_cmp_ne_u32_e32 vcc, v10, v8
	v_cndmask_b32_e64 v8, 0, 1, vcc
	v_add_u32_e32 v10, 0xfffffc10, v9
	v_or_b32_e32 v8, v12, v8
	v_lshl_or_b32 v9, v10, 12, v3
	v_cmp_gt_i32_e32 vcc, 1, v10
	v_cndmask_b32_e32 v8, v9, v8, vcc
	v_and_b32_e32 v9, 7, v8
	v_cmp_lt_i32_e32 vcc, 5, v9
	v_cmp_eq_u32_e64 s[2:3], 3, v9
	v_lshrrev_b32_e32 v8, 2, v8
	s_or_b64 vcc, s[2:3], vcc
	v_addc_co_u32_e32 v8, vcc, 0, v8, vcc
	v_cmp_gt_i32_e32 vcc, 31, v10
	v_lshrrev_b32_e32 v13, 16, v4
	v_cndmask_b32_e32 v12, v2, v8, vcc
	v_mul_f16_sdwa v8, v60, v13 dst_sel:DWORD dst_unused:UNUSED_PAD src0_sel:WORD_1 src1_sel:DWORD
	v_fma_f16 v8, v60, v4, v8
	v_cvt_f32_f16_e32 v8, v8
	v_cmp_ne_u32_e32 vcc, 0, v3
	v_cndmask_b32_e64 v3, 0, 1, vcc
	v_lshl_or_b32 v3, v3, 9, v2
	v_cvt_f64_f32_e32 v[8:9], v8
	v_cmp_eq_u32_e32 vcc, s11, v10
	v_cndmask_b32_e32 v3, v12, v3, vcc
	v_lshrrev_b32_e32 v10, 16, v11
	v_mul_f64 v[8:9], v[8:9], s[12:13]
	v_and_or_b32 v3, v10, s14, v3
	v_and_b32_e32 v0, 0xffff, v0
	v_add_co_u32_e32 v6, vcc, s4, v6
	v_lshl_or_b32 v0, v3, 16, v0
	v_addc_co_u32_e32 v7, vcc, v7, v5, vcc
	global_store_dword v[6:7], v0, off
	v_and_or_b32 v0, v9, s15, v8
	v_cmp_ne_u32_e32 vcc, 0, v0
	v_cndmask_b32_e64 v0, 0, 1, vcc
	v_lshrrev_b32_e32 v3, 8, v9
	v_bfe_u32 v5, v9, 20, 11
	v_and_or_b32 v0, v3, s10, v0
	v_sub_u32_e32 v8, 0x3f1, v5
	v_or_b32_e32 v3, 0x1000, v0
	v_med3_i32 v8, v8, 0, 13
	v_lshrrev_b32_e32 v10, v8, v3
	v_lshlrev_b32_e32 v8, v8, v10
	v_mul_f16_sdwa v4, v60, v4 dst_sel:DWORD dst_unused:UNUSED_PAD src0_sel:WORD_1 src1_sel:DWORD
	v_cmp_ne_u32_e32 vcc, v8, v3
	v_fma_f16 v4, v60, v13, -v4
	v_cndmask_b32_e64 v3, 0, 1, vcc
	v_add_u32_e32 v5, 0xfffffc10, v5
	v_cvt_f32_f16_e32 v4, v4
	v_or_b32_e32 v3, v10, v3
	v_lshl_or_b32 v8, v5, 12, v0
	v_cmp_gt_i32_e32 vcc, 1, v5
	v_cndmask_b32_e32 v3, v8, v3, vcc
	v_and_b32_e32 v8, 7, v3
	v_cmp_lt_i32_e32 vcc, 5, v8
	v_cmp_eq_u32_e64 s[2:3], 3, v8
	v_lshrrev_b32_e32 v8, 2, v3
	v_cvt_f64_f32_e32 v[3:4], v4
	s_or_b64 vcc, s[2:3], vcc
	v_addc_co_u32_e32 v8, vcc, 0, v8, vcc
	v_mul_f64 v[3:4], v[3:4], s[12:13]
	v_cmp_gt_i32_e32 vcc, 31, v5
	v_cndmask_b32_e32 v8, v2, v8, vcc
	v_cmp_ne_u32_e32 vcc, 0, v0
	v_cndmask_b32_e64 v0, 0, 1, vcc
	v_lshl_or_b32 v0, v0, 9, v2
	v_cmp_eq_u32_e32 vcc, s11, v5
	v_cndmask_b32_e32 v0, v8, v0, vcc
	v_and_or_b32 v3, v4, s15, v3
	v_lshrrev_b32_e32 v5, 16, v9
	v_cmp_ne_u32_e32 vcc, 0, v3
	v_and_or_b32 v0, v5, s14, v0
	v_cndmask_b32_e64 v3, 0, 1, vcc
	v_lshrrev_b32_e32 v5, 8, v4
	v_bfe_u32 v8, v4, 20, 11
	v_and_or_b32 v3, v5, s10, v3
	v_sub_u32_e32 v9, 0x3f1, v8
	v_or_b32_e32 v5, 0x1000, v3
	v_med3_i32 v9, v9, 0, 13
	v_lshrrev_b32_e32 v10, v9, v5
	v_lshlrev_b32_e32 v9, v9, v10
	v_cmp_ne_u32_e32 vcc, v9, v5
	ds_read_b32 v11, v58 offset:6336
	v_cndmask_b32_e64 v5, 0, 1, vcc
	v_or_b32_e32 v5, v10, v5
	v_add_u32_e32 v10, 0xfffffc10, v8
	v_lshl_or_b32 v8, v10, 12, v3
	v_cmp_gt_i32_e32 vcc, 1, v10
	v_cndmask_b32_e32 v5, v8, v5, vcc
	v_and_b32_e32 v8, 7, v5
	s_waitcnt lgkmcnt(0)
	v_lshrrev_b32_e32 v12, 16, v11
	v_cmp_lt_i32_e32 vcc, 5, v8
	v_cmp_eq_u32_e64 s[2:3], 3, v8
	v_mul_f16_sdwa v8, v59, v12 dst_sel:DWORD dst_unused:UNUSED_PAD src0_sel:WORD_1 src1_sel:DWORD
	v_fma_f16 v8, v59, v11, v8
	v_cvt_f32_f16_e32 v8, v8
	v_lshrrev_b32_e32 v5, 2, v5
	s_or_b64 vcc, s[2:3], vcc
	v_addc_co_u32_e32 v5, vcc, 0, v5, vcc
	v_cmp_gt_i32_e32 vcc, 31, v10
	v_cndmask_b32_e32 v5, v2, v5, vcc
	v_cmp_ne_u32_e32 vcc, 0, v3
	v_cvt_f64_f32_e32 v[8:9], v8
	v_cndmask_b32_e64 v3, 0, 1, vcc
	v_lshl_or_b32 v3, v3, 9, v2
	v_cmp_eq_u32_e32 vcc, s11, v10
	v_cndmask_b32_e32 v3, v5, v3, vcc
	v_lshrrev_b32_e32 v4, 16, v4
	v_and_or_b32 v5, v4, s14, v3
	v_mul_f64 v[3:4], v[8:9], s[12:13]
	v_and_b32_e32 v0, 0xffff, v0
	v_lshl_or_b32 v0, v5, 16, v0
	v_add_co_u32_e32 v5, vcc, s6, v6
	v_addc_co_u32_e32 v6, vcc, v7, v1, vcc
	global_store_dword v[5:6], v0, off
	v_and_or_b32 v0, v4, s15, v3
	v_cmp_ne_u32_e32 vcc, 0, v0
	v_cndmask_b32_e64 v0, 0, 1, vcc
	v_lshrrev_b32_e32 v3, 8, v4
	v_bfe_u32 v7, v4, 20, 11
	v_and_or_b32 v0, v3, s10, v0
	v_sub_u32_e32 v8, 0x3f1, v7
	v_or_b32_e32 v3, 0x1000, v0
	v_med3_i32 v8, v8, 0, 13
	v_lshrrev_b32_e32 v9, v8, v3
	v_lshlrev_b32_e32 v8, v8, v9
	v_cmp_ne_u32_e32 vcc, v8, v3
	v_mul_f16_sdwa v8, v59, v11 dst_sel:DWORD dst_unused:UNUSED_PAD src0_sel:WORD_1 src1_sel:DWORD
	v_cndmask_b32_e64 v3, 0, 1, vcc
	v_fma_f16 v8, v59, v12, -v8
	v_or_b32_e32 v3, v9, v3
	v_add_u32_e32 v9, 0xfffffc10, v7
	v_cvt_f32_f16_e32 v8, v8
	v_lshl_or_b32 v7, v9, 12, v0
	v_cmp_gt_i32_e32 vcc, 1, v9
	v_cndmask_b32_e32 v3, v7, v3, vcc
	v_and_b32_e32 v7, 7, v3
	v_cmp_lt_i32_e32 vcc, 5, v7
	v_cmp_eq_u32_e64 s[2:3], 3, v7
	v_cvt_f64_f32_e32 v[7:8], v8
	v_lshrrev_b32_e32 v3, 2, v3
	s_or_b64 vcc, s[2:3], vcc
	v_addc_co_u32_e32 v3, vcc, 0, v3, vcc
	v_mul_f64 v[7:8], v[7:8], s[12:13]
	v_cmp_gt_i32_e32 vcc, 31, v9
	v_cndmask_b32_e32 v3, v2, v3, vcc
	v_cmp_ne_u32_e32 vcc, 0, v0
	v_cndmask_b32_e64 v0, 0, 1, vcc
	v_lshl_or_b32 v0, v0, 9, v2
	v_cmp_eq_u32_e32 vcc, s11, v9
	v_cndmask_b32_e32 v0, v3, v0, vcc
	v_lshrrev_b32_e32 v3, 16, v4
	v_and_or_b32 v0, v3, s14, v0
	v_and_or_b32 v3, v8, s15, v7
	v_cmp_ne_u32_e32 vcc, 0, v3
	v_cndmask_b32_e64 v3, 0, 1, vcc
	v_lshrrev_b32_e32 v4, 8, v8
	v_bfe_u32 v7, v8, 20, 11
	v_and_or_b32 v3, v4, s10, v3
	v_sub_u32_e32 v9, 0x3f1, v7
	v_or_b32_e32 v4, 0x1000, v3
	v_med3_i32 v9, v9, 0, 13
	v_lshrrev_b32_e32 v10, v9, v4
	v_lshlrev_b32_e32 v9, v9, v10
	v_cmp_ne_u32_e32 vcc, v9, v4
	v_cndmask_b32_e64 v4, 0, 1, vcc
	v_add_u32_e32 v7, 0xfffffc10, v7
	v_or_b32_e32 v4, v10, v4
	v_lshl_or_b32 v9, v7, 12, v3
	v_cmp_gt_i32_e32 vcc, 1, v7
	v_cndmask_b32_e32 v4, v9, v4, vcc
	v_and_b32_e32 v9, 7, v4
	v_cmp_lt_i32_e32 vcc, 5, v9
	v_cmp_eq_u32_e64 s[2:3], 3, v9
	v_lshrrev_b32_e32 v4, 2, v4
	s_or_b64 vcc, s[2:3], vcc
	v_addc_co_u32_e32 v4, vcc, 0, v4, vcc
	v_cmp_gt_i32_e32 vcc, 31, v7
	v_cndmask_b32_e32 v4, v2, v4, vcc
	v_cmp_ne_u32_e32 vcc, 0, v3
	v_cndmask_b32_e64 v3, 0, 1, vcc
	v_lshl_or_b32 v3, v3, 9, v2
	v_cmp_eq_u32_e32 vcc, s11, v7
	v_cndmask_b32_e32 v3, v4, v3, vcc
	v_lshrrev_b32_e32 v4, 16, v8
	v_and_or_b32 v3, v4, s14, v3
	v_and_b32_e32 v0, 0xffff, v0
	v_lshl_or_b32 v3, v3, 16, v0
	v_add_co_u32_e32 v0, vcc, s6, v5
	v_addc_co_u32_e32 v1, vcc, v6, v1, vcc
	global_store_dword v[0:1], v3, off
	s_and_b64 exec, exec, s[0:1]
	s_cbranch_execz .LBB0_31
; %bb.30:
	global_load_dword v5, v[39:40], off offset:2160
	v_add_u32_e32 v3, 0x70, v58
	ds_read2st64_b32 v[3:4], v3 offset0:8 offset1:17
	v_add_co_u32_e32 v9, vcc, s16, v39
	v_addc_co_u32_e32 v10, vcc, 0, v40, vcc
	s_waitcnt lgkmcnt(0)
	v_lshrrev_b32_e32 v6, 16, v3
	v_mov_b32_e32 v11, s5
	v_add_co_u32_e32 v0, vcc, s4, v0
	v_addc_co_u32_e32 v1, vcc, v1, v11, vcc
	s_waitcnt vmcnt(0)
	v_mul_f16_sdwa v7, v6, v5 dst_sel:DWORD dst_unused:UNUSED_PAD src0_sel:DWORD src1_sel:WORD_1
	v_fma_f16 v7, v3, v5, v7
	v_mul_f16_sdwa v3, v3, v5 dst_sel:DWORD dst_unused:UNUSED_PAD src0_sel:DWORD src1_sel:WORD_1
	v_cvt_f32_f16_e32 v7, v7
	v_fma_f16 v3, v5, v6, -v3
	v_cvt_f32_f16_e32 v3, v3
	v_cvt_f64_f32_e32 v[5:6], v7
	v_cvt_f64_f32_e32 v[7:8], v3
	v_mul_f64 v[5:6], v[5:6], s[12:13]
	v_mul_f64 v[7:8], v[7:8], s[12:13]
	v_and_or_b32 v3, v6, s15, v5
	v_cmp_ne_u32_e32 vcc, 0, v3
	v_and_or_b32 v7, v8, s15, v7
	v_lshrrev_b32_e32 v5, 8, v6
	v_bfe_u32 v11, v6, 20, 11
	v_cndmask_b32_e64 v3, 0, 1, vcc
	v_cmp_ne_u32_e32 vcc, 0, v7
	v_lshrrev_b32_e32 v12, 8, v8
	v_bfe_u32 v13, v8, 20, 11
	v_sub_u32_e32 v14, 0x3f1, v11
	v_cndmask_b32_e64 v7, 0, 1, vcc
	v_and_or_b32 v3, v5, s10, v3
	v_sub_u32_e32 v15, 0x3f1, v13
	v_med3_i32 v5, v14, 0, 13
	v_and_or_b32 v7, v12, s10, v7
	v_or_b32_e32 v14, 0x1000, v3
	v_add_u32_e32 v11, 0xfffffc10, v11
	v_med3_i32 v12, v15, 0, 13
	v_cmp_ne_u32_e32 vcc, 0, v3
	v_or_b32_e32 v16, 0x1000, v7
	v_lshrrev_b32_e32 v18, v5, v14
	v_add_u32_e32 v13, 0xfffffc10, v13
	v_lshl_or_b32 v15, v11, 12, v3
	v_cndmask_b32_e64 v3, 0, 1, vcc
	v_cmp_ne_u32_e32 vcc, 0, v7
	v_lshrrev_b32_e32 v19, v12, v16
	v_lshlrev_b32_e32 v5, v5, v18
	v_lshl_or_b32 v17, v13, 12, v7
	v_cndmask_b32_e64 v7, 0, 1, vcc
	v_lshlrev_b32_e32 v12, v12, v19
	v_cmp_ne_u32_e32 vcc, v5, v14
	v_cndmask_b32_e64 v5, 0, 1, vcc
	v_cmp_ne_u32_e32 vcc, v12, v16
	v_cndmask_b32_e64 v12, 0, 1, vcc
	v_or_b32_e32 v5, v18, v5
	v_cmp_gt_i32_e32 vcc, 1, v11
	v_cndmask_b32_e32 v5, v15, v5, vcc
	v_or_b32_e32 v12, v19, v12
	v_cmp_gt_i32_e32 vcc, 1, v13
	v_and_b32_e32 v14, 7, v5
	v_cndmask_b32_e32 v12, v17, v12, vcc
	v_cmp_lt_i32_e32 vcc, 5, v14
	v_cmp_eq_u32_e64 s[0:1], 3, v14
	v_lshrrev_b32_e32 v5, 2, v5
	v_and_b32_e32 v15, 7, v12
	s_or_b64 vcc, s[0:1], vcc
	v_cmp_lt_i32_e64 s[2:3], 5, v15
	v_cmp_eq_u32_e64 s[4:5], 3, v15
	v_addc_co_u32_e32 v5, vcc, 0, v5, vcc
	v_lshrrev_b32_e32 v12, 2, v12
	s_or_b64 vcc, s[4:5], s[2:3]
	v_addc_co_u32_e32 v12, vcc, 0, v12, vcc
	v_cmp_gt_i32_e32 vcc, 31, v11
	v_cndmask_b32_e32 v5, v2, v5, vcc
	v_cmp_gt_i32_e32 vcc, 31, v13
	v_lshl_or_b32 v3, v3, 9, v2
	v_cndmask_b32_e32 v12, v2, v12, vcc
	v_cmp_eq_u32_e32 vcc, s11, v11
	v_lshrrev_b32_e32 v6, 16, v6
	v_lshl_or_b32 v7, v7, 9, v2
	v_cndmask_b32_e32 v3, v5, v3, vcc
	v_cmp_eq_u32_e32 vcc, s11, v13
	v_lshrrev_b32_e32 v8, 16, v8
	v_cndmask_b32_e32 v5, v12, v7, vcc
	v_and_or_b32 v3, v6, s14, v3
	v_and_or_b32 v5, v8, s14, v5
	v_and_b32_e32 v3, 0xffff, v3
	v_lshl_or_b32 v3, v5, 16, v3
	global_store_dword v[0:1], v3, off
	global_load_dword v3, v[9:10], off offset:368
	v_lshrrev_b32_e32 v5, 16, v4
	v_mov_b32_e32 v7, s7
	v_add_co_u32_e32 v0, vcc, s6, v0
	v_addc_co_u32_e32 v1, vcc, v1, v7, vcc
	s_waitcnt vmcnt(0)
	v_mul_f16_sdwa v6, v5, v3 dst_sel:DWORD dst_unused:UNUSED_PAD src0_sel:DWORD src1_sel:WORD_1
	v_fma_f16 v6, v4, v3, v6
	v_mul_f16_sdwa v4, v4, v3 dst_sel:DWORD dst_unused:UNUSED_PAD src0_sel:DWORD src1_sel:WORD_1
	v_cvt_f32_f16_e32 v6, v6
	v_fma_f16 v3, v3, v5, -v4
	v_cvt_f32_f16_e32 v5, v3
	v_cvt_f64_f32_e32 v[3:4], v6
	v_cvt_f64_f32_e32 v[5:6], v5
	v_mul_f64 v[3:4], v[3:4], s[12:13]
	v_mul_f64 v[5:6], v[5:6], s[12:13]
	v_and_or_b32 v3, v4, s15, v3
	v_cmp_ne_u32_e32 vcc, 0, v3
	v_and_or_b32 v5, v6, s15, v5
	v_lshrrev_b32_e32 v8, 8, v4
	v_bfe_u32 v11, v4, 20, 11
	v_cndmask_b32_e64 v3, 0, 1, vcc
	v_cmp_ne_u32_e32 vcc, 0, v5
	v_lshrrev_b32_e32 v12, 8, v6
	v_bfe_u32 v13, v6, 20, 11
	v_sub_u32_e32 v14, 0x3f1, v11
	v_cndmask_b32_e64 v5, 0, 1, vcc
	v_and_or_b32 v3, v8, s10, v3
	v_sub_u32_e32 v15, 0x3f1, v13
	v_med3_i32 v8, v14, 0, 13
	v_and_or_b32 v5, v12, s10, v5
	v_or_b32_e32 v14, 0x1000, v3
	v_add_u32_e32 v11, 0xfffffc10, v11
	v_med3_i32 v12, v15, 0, 13
	v_cmp_ne_u32_e32 vcc, 0, v3
	v_or_b32_e32 v16, 0x1000, v5
	v_lshrrev_b32_e32 v18, v8, v14
	v_add_u32_e32 v13, 0xfffffc10, v13
	v_lshl_or_b32 v15, v11, 12, v3
	v_cndmask_b32_e64 v3, 0, 1, vcc
	v_cmp_ne_u32_e32 vcc, 0, v5
	v_lshrrev_b32_e32 v19, v12, v16
	v_lshlrev_b32_e32 v8, v8, v18
	v_lshl_or_b32 v17, v13, 12, v5
	v_cndmask_b32_e64 v5, 0, 1, vcc
	v_lshlrev_b32_e32 v12, v12, v19
	v_cmp_ne_u32_e32 vcc, v8, v14
	v_cndmask_b32_e64 v8, 0, 1, vcc
	v_cmp_ne_u32_e32 vcc, v12, v16
	v_cndmask_b32_e64 v12, 0, 1, vcc
	v_or_b32_e32 v8, v18, v8
	v_cmp_gt_i32_e32 vcc, 1, v11
	v_cndmask_b32_e32 v8, v15, v8, vcc
	v_or_b32_e32 v12, v19, v12
	v_cmp_gt_i32_e32 vcc, 1, v13
	v_and_b32_e32 v14, 7, v8
	v_cndmask_b32_e32 v12, v17, v12, vcc
	v_cmp_lt_i32_e32 vcc, 5, v14
	v_cmp_eq_u32_e64 s[0:1], 3, v14
	v_lshrrev_b32_e32 v8, 2, v8
	v_and_b32_e32 v15, 7, v12
	s_or_b64 vcc, s[0:1], vcc
	v_cmp_lt_i32_e64 s[2:3], 5, v15
	v_cmp_eq_u32_e64 s[4:5], 3, v15
	v_addc_co_u32_e32 v8, vcc, 0, v8, vcc
	v_lshrrev_b32_e32 v12, 2, v12
	s_or_b64 vcc, s[4:5], s[2:3]
	v_addc_co_u32_e32 v12, vcc, 0, v12, vcc
	v_cmp_gt_i32_e32 vcc, 31, v11
	v_cndmask_b32_e32 v8, v2, v8, vcc
	v_cmp_gt_i32_e32 vcc, 31, v13
	v_lshl_or_b32 v3, v3, 9, v2
	v_cndmask_b32_e32 v12, v2, v12, vcc
	v_cmp_eq_u32_e32 vcc, s11, v11
	v_lshrrev_b32_e32 v4, 16, v4
	v_lshl_or_b32 v5, v5, 9, v2
	v_cndmask_b32_e32 v3, v8, v3, vcc
	v_cmp_eq_u32_e32 vcc, s11, v13
	v_lshrrev_b32_e32 v6, 16, v6
	v_cndmask_b32_e32 v5, v12, v5, vcc
	v_and_or_b32 v3, v4, s14, v3
	v_and_or_b32 v4, v6, s14, v5
	v_and_b32_e32 v3, 0xffff, v3
	v_lshl_or_b32 v3, v4, 16, v3
	global_store_dword v[0:1], v3, off
	global_load_dword v3, v[9:10], off offset:2672
	ds_read_b32 v4, v58 offset:6768
	s_waitcnt lgkmcnt(0)
	v_lshrrev_b32_e32 v5, 16, v4
	s_waitcnt vmcnt(0)
	v_mul_f16_sdwa v6, v5, v3 dst_sel:DWORD dst_unused:UNUSED_PAD src0_sel:DWORD src1_sel:WORD_1
	v_fma_f16 v6, v4, v3, v6
	v_mul_f16_sdwa v4, v4, v3 dst_sel:DWORD dst_unused:UNUSED_PAD src0_sel:DWORD src1_sel:WORD_1
	v_cvt_f32_f16_e32 v6, v6
	v_fma_f16 v3, v3, v5, -v4
	v_cvt_f32_f16_e32 v5, v3
	v_cvt_f64_f32_e32 v[3:4], v6
	v_cvt_f64_f32_e32 v[5:6], v5
	v_mul_f64 v[3:4], v[3:4], s[12:13]
	v_mul_f64 v[5:6], v[5:6], s[12:13]
	v_and_or_b32 v3, v4, s15, v3
	v_cmp_ne_u32_e32 vcc, 0, v3
	v_and_or_b32 v5, v6, s15, v5
	v_lshrrev_b32_e32 v8, 8, v4
	v_bfe_u32 v9, v4, 20, 11
	v_cndmask_b32_e64 v3, 0, 1, vcc
	v_cmp_ne_u32_e32 vcc, 0, v5
	v_lshrrev_b32_e32 v10, 8, v6
	v_bfe_u32 v11, v6, 20, 11
	v_sub_u32_e32 v12, 0x3f1, v9
	v_cndmask_b32_e64 v5, 0, 1, vcc
	v_and_or_b32 v3, v8, s10, v3
	v_sub_u32_e32 v13, 0x3f1, v11
	v_med3_i32 v8, v12, 0, 13
	v_and_or_b32 v5, v10, s10, v5
	v_or_b32_e32 v12, 0x1000, v3
	v_add_u32_e32 v9, 0xfffffc10, v9
	v_med3_i32 v10, v13, 0, 13
	v_cmp_ne_u32_e32 vcc, 0, v3
	v_or_b32_e32 v14, 0x1000, v5
	v_lshrrev_b32_e32 v16, v8, v12
	v_add_u32_e32 v11, 0xfffffc10, v11
	v_lshl_or_b32 v13, v9, 12, v3
	v_cndmask_b32_e64 v3, 0, 1, vcc
	v_cmp_ne_u32_e32 vcc, 0, v5
	v_lshrrev_b32_e32 v17, v10, v14
	v_lshlrev_b32_e32 v8, v8, v16
	v_lshl_or_b32 v15, v11, 12, v5
	v_cndmask_b32_e64 v5, 0, 1, vcc
	v_lshlrev_b32_e32 v10, v10, v17
	v_cmp_ne_u32_e32 vcc, v8, v12
	v_cndmask_b32_e64 v8, 0, 1, vcc
	v_cmp_ne_u32_e32 vcc, v10, v14
	v_cndmask_b32_e64 v10, 0, 1, vcc
	v_or_b32_e32 v8, v16, v8
	v_cmp_gt_i32_e32 vcc, 1, v9
	v_cndmask_b32_e32 v8, v13, v8, vcc
	v_or_b32_e32 v10, v17, v10
	v_cmp_gt_i32_e32 vcc, 1, v11
	v_and_b32_e32 v12, 7, v8
	v_cndmask_b32_e32 v10, v15, v10, vcc
	v_cmp_lt_i32_e32 vcc, 5, v12
	v_cmp_eq_u32_e64 s[0:1], 3, v12
	v_lshrrev_b32_e32 v8, 2, v8
	v_and_b32_e32 v13, 7, v10
	s_or_b64 vcc, s[0:1], vcc
	v_cmp_lt_i32_e64 s[2:3], 5, v13
	v_cmp_eq_u32_e64 s[4:5], 3, v13
	v_addc_co_u32_e32 v8, vcc, 0, v8, vcc
	v_lshrrev_b32_e32 v10, 2, v10
	s_or_b64 vcc, s[4:5], s[2:3]
	v_addc_co_u32_e32 v10, vcc, 0, v10, vcc
	v_cmp_gt_i32_e32 vcc, 31, v9
	v_cndmask_b32_e32 v8, v2, v8, vcc
	v_cmp_gt_i32_e32 vcc, 31, v11
	v_lshl_or_b32 v3, v3, 9, v2
	v_lshl_or_b32 v5, v5, 9, v2
	v_cndmask_b32_e32 v2, v2, v10, vcc
	v_cmp_eq_u32_e32 vcc, s11, v9
	v_lshrrev_b32_e32 v4, 16, v4
	v_cndmask_b32_e32 v3, v8, v3, vcc
	v_cmp_eq_u32_e32 vcc, s11, v11
	v_lshrrev_b32_e32 v6, 16, v6
	v_cndmask_b32_e32 v2, v2, v5, vcc
	v_and_or_b32 v3, v4, s14, v3
	v_and_or_b32 v2, v6, s14, v2
	v_and_b32_e32 v3, 0xffff, v3
	v_add_co_u32_e32 v0, vcc, s6, v0
	v_lshl_or_b32 v2, v2, 16, v3
	v_addc_co_u32_e32 v1, vcc, v1, v7, vcc
	global_store_dword v[0:1], v2, off
.LBB0_31:
	s_endpgm
	.section	.rodata,"a",@progbits
	.p2align	6, 0x0
	.amdhsa_kernel bluestein_single_back_len1728_dim1_half_op_CI_CI
		.amdhsa_group_segment_fixed_size 6912
		.amdhsa_private_segment_fixed_size 0
		.amdhsa_kernarg_size 104
		.amdhsa_user_sgpr_count 6
		.amdhsa_user_sgpr_private_segment_buffer 1
		.amdhsa_user_sgpr_dispatch_ptr 0
		.amdhsa_user_sgpr_queue_ptr 0
		.amdhsa_user_sgpr_kernarg_segment_ptr 1
		.amdhsa_user_sgpr_dispatch_id 0
		.amdhsa_user_sgpr_flat_scratch_init 0
		.amdhsa_user_sgpr_private_segment_size 0
		.amdhsa_uses_dynamic_stack 0
		.amdhsa_system_sgpr_private_segment_wavefront_offset 0
		.amdhsa_system_sgpr_workgroup_id_x 1
		.amdhsa_system_sgpr_workgroup_id_y 0
		.amdhsa_system_sgpr_workgroup_id_z 0
		.amdhsa_system_sgpr_workgroup_info 0
		.amdhsa_system_vgpr_workitem_id 0
		.amdhsa_next_free_vgpr 126
		.amdhsa_next_free_sgpr 19
		.amdhsa_reserve_vcc 1
		.amdhsa_reserve_flat_scratch 0
		.amdhsa_float_round_mode_32 0
		.amdhsa_float_round_mode_16_64 0
		.amdhsa_float_denorm_mode_32 3
		.amdhsa_float_denorm_mode_16_64 3
		.amdhsa_dx10_clamp 1
		.amdhsa_ieee_mode 1
		.amdhsa_fp16_overflow 0
		.amdhsa_exception_fp_ieee_invalid_op 0
		.amdhsa_exception_fp_denorm_src 0
		.amdhsa_exception_fp_ieee_div_zero 0
		.amdhsa_exception_fp_ieee_overflow 0
		.amdhsa_exception_fp_ieee_underflow 0
		.amdhsa_exception_fp_ieee_inexact 0
		.amdhsa_exception_int_div_zero 0
	.end_amdhsa_kernel
	.text
.Lfunc_end0:
	.size	bluestein_single_back_len1728_dim1_half_op_CI_CI, .Lfunc_end0-bluestein_single_back_len1728_dim1_half_op_CI_CI
                                        ; -- End function
	.section	.AMDGPU.csdata,"",@progbits
; Kernel info:
; codeLenInByte = 25396
; NumSgprs: 23
; NumVgprs: 126
; ScratchSize: 0
; MemoryBound: 0
; FloatMode: 240
; IeeeMode: 1
; LDSByteSize: 6912 bytes/workgroup (compile time only)
; SGPRBlocks: 2
; VGPRBlocks: 31
; NumSGPRsForWavesPerEU: 23
; NumVGPRsForWavesPerEU: 126
; Occupancy: 2
; WaveLimiterHint : 1
; COMPUTE_PGM_RSRC2:SCRATCH_EN: 0
; COMPUTE_PGM_RSRC2:USER_SGPR: 6
; COMPUTE_PGM_RSRC2:TRAP_HANDLER: 0
; COMPUTE_PGM_RSRC2:TGID_X_EN: 1
; COMPUTE_PGM_RSRC2:TGID_Y_EN: 0
; COMPUTE_PGM_RSRC2:TGID_Z_EN: 0
; COMPUTE_PGM_RSRC2:TIDIG_COMP_CNT: 0
	.type	__hip_cuid_8c14e3bbdd16ac5a,@object ; @__hip_cuid_8c14e3bbdd16ac5a
	.section	.bss,"aw",@nobits
	.globl	__hip_cuid_8c14e3bbdd16ac5a
__hip_cuid_8c14e3bbdd16ac5a:
	.byte	0                               ; 0x0
	.size	__hip_cuid_8c14e3bbdd16ac5a, 1

	.ident	"AMD clang version 19.0.0git (https://github.com/RadeonOpenCompute/llvm-project roc-6.4.0 25133 c7fe45cf4b819c5991fe208aaa96edf142730f1d)"
	.section	".note.GNU-stack","",@progbits
	.addrsig
	.addrsig_sym __hip_cuid_8c14e3bbdd16ac5a
	.amdgpu_metadata
---
amdhsa.kernels:
  - .args:
      - .actual_access:  read_only
        .address_space:  global
        .offset:         0
        .size:           8
        .value_kind:     global_buffer
      - .actual_access:  read_only
        .address_space:  global
        .offset:         8
        .size:           8
        .value_kind:     global_buffer
      - .actual_access:  read_only
        .address_space:  global
        .offset:         16
        .size:           8
        .value_kind:     global_buffer
      - .actual_access:  read_only
        .address_space:  global
        .offset:         24
        .size:           8
        .value_kind:     global_buffer
      - .actual_access:  read_only
        .address_space:  global
        .offset:         32
        .size:           8
        .value_kind:     global_buffer
      - .offset:         40
        .size:           8
        .value_kind:     by_value
      - .address_space:  global
        .offset:         48
        .size:           8
        .value_kind:     global_buffer
      - .address_space:  global
        .offset:         56
        .size:           8
        .value_kind:     global_buffer
      - .address_space:  global
        .offset:         64
        .size:           8
        .value_kind:     global_buffer
      - .address_space:  global
        .offset:         72
        .size:           8
        .value_kind:     global_buffer
      - .offset:         80
        .size:           4
        .value_kind:     by_value
      - .address_space:  global
        .offset:         88
        .size:           8
        .value_kind:     global_buffer
      - .address_space:  global
        .offset:         96
        .size:           8
        .value_kind:     global_buffer
    .group_segment_fixed_size: 6912
    .kernarg_segment_align: 8
    .kernarg_segment_size: 104
    .language:       OpenCL C
    .language_version:
      - 2
      - 0
    .max_flat_workgroup_size: 108
    .name:           bluestein_single_back_len1728_dim1_half_op_CI_CI
    .private_segment_fixed_size: 0
    .sgpr_count:     23
    .sgpr_spill_count: 0
    .symbol:         bluestein_single_back_len1728_dim1_half_op_CI_CI.kd
    .uniform_work_group_size: 1
    .uses_dynamic_stack: false
    .vgpr_count:     126
    .vgpr_spill_count: 0
    .wavefront_size: 64
amdhsa.target:   amdgcn-amd-amdhsa--gfx906
amdhsa.version:
  - 1
  - 2
...

	.end_amdgpu_metadata
